;; amdgpu-corpus repo=ROCm/rocFFT kind=compiled arch=gfx1201 opt=O3
	.text
	.amdgcn_target "amdgcn-amd-amdhsa--gfx1201"
	.amdhsa_code_object_version 6
	.protected	bluestein_single_back_len420_dim1_half_op_CI_CI ; -- Begin function bluestein_single_back_len420_dim1_half_op_CI_CI
	.globl	bluestein_single_back_len420_dim1_half_op_CI_CI
	.p2align	8
	.type	bluestein_single_back_len420_dim1_half_op_CI_CI,@function
bluestein_single_back_len420_dim1_half_op_CI_CI: ; @bluestein_single_back_len420_dim1_half_op_CI_CI
; %bb.0:
	s_load_b128 s[8:11], s[0:1], 0x28
	v_mul_u32_u24_e32 v1, 0x445, v0
	s_mov_b32 s2, exec_lo
	v_mov_b32_e32 v13, 0
	s_delay_alu instid0(VALU_DEP_2) | instskip(NEXT) | instid1(VALU_DEP_1)
	v_lshrrev_b32_e32 v1, 16, v1
	v_add_nc_u32_e32 v12, ttmp9, v1
	s_wait_kmcnt 0x0
	s_delay_alu instid0(VALU_DEP_1)
	v_cmpx_gt_u64_e64 s[8:9], v[12:13]
	s_cbranch_execz .LBB0_23
; %bb.1:
	s_clause 0x1
	s_load_b64 s[12:13], s[0:1], 0x0
	s_load_b64 s[8:9], s[0:1], 0x38
	v_mul_lo_u16 v1, v1, 60
	s_delay_alu instid0(VALU_DEP_1) | instskip(NEXT) | instid1(VALU_DEP_1)
	v_sub_nc_u16 v0, v0, v1
	v_and_b32_e32 v31, 0xffff, v0
	v_cmp_gt_u16_e32 vcc_lo, 42, v0
	s_delay_alu instid0(VALU_DEP_2)
	v_lshlrev_b32_e32 v30, 2, v31
	s_and_saveexec_b32 s3, vcc_lo
	s_cbranch_execz .LBB0_3
; %bb.2:
	s_load_b64 s[4:5], s[0:1], 0x18
	s_wait_kmcnt 0x0
	s_load_b128 s[4:7], s[4:5], 0x0
	s_wait_kmcnt 0x0
	v_mad_co_u64_u32 v[0:1], null, s6, v12, 0
	v_mad_co_u64_u32 v[2:3], null, s4, v31, 0
	s_delay_alu instid0(VALU_DEP_1) | instskip(NEXT) | instid1(VALU_DEP_1)
	v_mad_co_u64_u32 v[4:5], null, s7, v12, v[1:2]
	v_mad_co_u64_u32 v[5:6], null, s5, v31, v[3:4]
	v_mov_b32_e32 v1, v4
	s_mul_u64 s[4:5], s[4:5], 0xa8
	s_delay_alu instid0(VALU_DEP_1) | instskip(NEXT) | instid1(VALU_DEP_3)
	v_lshlrev_b64_e32 v[0:1], 2, v[0:1]
	v_mov_b32_e32 v3, v5
	s_clause 0x9
	global_load_b32 v4, v30, s[12:13]
	global_load_b32 v5, v30, s[12:13] offset:168
	global_load_b32 v6, v30, s[12:13] offset:336
	;; [unrolled: 1-line block ×9, first 2 shown]
	v_lshlrev_b64_e32 v[2:3], 2, v[2:3]
	v_add_co_u32 v0, s2, s10, v0
	s_delay_alu instid0(VALU_DEP_1) | instskip(NEXT) | instid1(VALU_DEP_2)
	v_add_co_ci_u32_e64 v1, s2, s11, v1, s2
	v_add_co_u32 v0, s2, v0, v2
	s_wait_alu 0xf1ff
	s_delay_alu instid0(VALU_DEP_2) | instskip(SKIP_1) | instid1(VALU_DEP_2)
	v_add_co_ci_u32_e64 v1, s2, v1, v3, s2
	s_wait_alu 0xfffe
	v_add_co_u32 v2, s2, v0, s4
	s_wait_alu 0xf1ff
	s_delay_alu instid0(VALU_DEP_2)
	v_add_co_ci_u32_e64 v3, s2, s5, v1, s2
	s_clause 0x1
	global_load_b32 v15, v[0:1], off
	global_load_b32 v16, v[2:3], off
	v_add_co_u32 v0, s2, v2, s4
	s_wait_alu 0xf1ff
	v_add_co_ci_u32_e64 v1, s2, s5, v3, s2
	s_delay_alu instid0(VALU_DEP_2) | instskip(SKIP_1) | instid1(VALU_DEP_2)
	v_add_co_u32 v2, s2, v0, s4
	s_wait_alu 0xf1ff
	v_add_co_ci_u32_e64 v3, s2, s5, v1, s2
	s_clause 0x1
	global_load_b32 v17, v[0:1], off
	global_load_b32 v18, v[2:3], off
	v_add_co_u32 v0, s2, v2, s4
	s_wait_alu 0xf1ff
	v_add_co_ci_u32_e64 v1, s2, s5, v3, s2
	s_delay_alu instid0(VALU_DEP_2) | instskip(SKIP_1) | instid1(VALU_DEP_2)
	v_add_co_u32 v2, s2, v0, s4
	s_wait_alu 0xf1ff
	v_add_co_ci_u32_e64 v3, s2, s5, v1, s2
	global_load_b32 v19, v[0:1], off
	v_add_co_u32 v0, s2, v2, s4
	s_wait_alu 0xf1ff
	v_add_co_ci_u32_e64 v1, s2, s5, v3, s2
	global_load_b32 v20, v[2:3], off
	;; [unrolled: 4-line block ×5, first 2 shown]
	global_load_b32 v1, v[2:3], off
	v_add_nc_u32_e32 v2, 0x200, v30
	s_wait_loadcnt 0x13
	v_lshrrev_b32_e32 v3, 16, v4
	s_wait_loadcnt 0x12
	v_lshrrev_b32_e32 v23, 16, v5
	;; [unrolled: 2-line block ×11, first 2 shown]
	v_mul_f16_e32 v34, v3, v15
	s_wait_loadcnt 0x8
	v_lshrrev_b32_e32 v35, 16, v16
	v_mul_f16_e32 v37, v23, v16
	v_mul_f16_e32 v3, v3, v28
	v_fma_f16 v28, v4, v28, -v34
	s_delay_alu instid0(VALU_DEP_2)
	v_fmac_f16_e32 v3, v4, v15
	v_mul_f16_e32 v4, v23, v35
	v_fma_f16 v23, v5, v35, -v37
	s_wait_loadcnt 0x7
	v_lshrrev_b32_e32 v15, 16, v17
	v_mul_f16_e32 v34, v24, v17
	v_fmac_f16_e32 v4, v5, v16
	s_wait_loadcnt 0x6
	v_lshrrev_b32_e32 v16, 16, v18
	v_pack_b32_f16 v3, v3, v28
	v_mul_f16_e32 v5, v24, v15
	v_fma_f16 v15, v6, v15, -v34
	v_mul_f16_e32 v24, v25, v18
	v_pack_b32_f16 v4, v4, v23
	s_delay_alu instid0(VALU_DEP_4)
	v_fmac_f16_e32 v5, v6, v17
	v_mul_f16_e32 v6, v25, v16
	s_wait_loadcnt 0x5
	v_lshrrev_b32_e32 v17, 16, v19
	v_mul_f16_e32 v23, v26, v19
	v_fma_f16 v16, v7, v16, -v24
	v_pack_b32_f16 v5, v5, v15
	v_fmac_f16_e32 v6, v7, v18
	v_mul_f16_e32 v7, v26, v17
	v_fma_f16 v15, v8, v17, -v23
	s_wait_loadcnt 0x4
	v_lshrrev_b32_e32 v17, 16, v20
	v_mul_f16_e32 v18, v27, v20
	v_pack_b32_f16 v6, v6, v16
	v_fmac_f16_e32 v7, v8, v19
	s_wait_loadcnt 0x3
	v_lshrrev_b32_e32 v8, 16, v21
	v_mul_f16_e32 v16, v27, v17
	v_fma_f16 v17, v9, v17, -v18
	v_mul_f16_e32 v18, v29, v21
	v_pack_b32_f16 v7, v7, v15
	v_mul_f16_e32 v15, v29, v8
	v_fmac_f16_e32 v16, v9, v20
	s_wait_loadcnt 0x2
	v_lshrrev_b32_e32 v9, 16, v22
	v_fma_f16 v8, v10, v8, -v18
	v_mul_f16_e32 v18, v32, v22
	v_fmac_f16_e32 v15, v10, v21
	s_wait_loadcnt 0x1
	v_lshrrev_b32_e32 v10, 16, v0
	s_wait_loadcnt 0x0
	v_lshrrev_b32_e32 v20, 16, v1
	v_mul_f16_e32 v19, v32, v9
	v_fma_f16 v9, v11, v9, -v18
	v_mul_f16_e32 v18, v33, v0
	v_mul_f16_e32 v21, v33, v10
	;; [unrolled: 1-line block ×4, first 2 shown]
	v_fmac_f16_e32 v19, v11, v22
	v_fma_f16 v10, v13, v10, -v18
	v_fmac_f16_e32 v21, v13, v0
	v_fma_f16 v0, v14, v20, -v23
	v_fmac_f16_e32 v24, v14, v1
	v_pack_b32_f16 v1, v16, v17
	v_pack_b32_f16 v8, v15, v8
	;; [unrolled: 1-line block ×5, first 2 shown]
	v_add_nc_u32_e32 v11, 0x400, v30
	ds_store_2addr_b32 v30, v3, v4 offset1:42
	ds_store_2addr_b32 v30, v5, v6 offset0:84 offset1:126
	ds_store_2addr_b32 v30, v7, v1 offset0:168 offset1:210
	;; [unrolled: 1-line block ×4, first 2 shown]
.LBB0_3:
	s_or_b32 exec_lo, exec_lo, s3
	s_clause 0x1
	s_load_b64 s[4:5], s[0:1], 0x20
	s_load_b64 s[2:3], s[0:1], 0x8
	global_wb scope:SCOPE_SE
	s_wait_dscnt 0x0
	s_wait_kmcnt 0x0
	s_barrier_signal -1
	s_barrier_wait -1
	global_inv scope:SCOPE_SE
                                        ; implicit-def: $vgpr1
                                        ; implicit-def: $vgpr3
                                        ; implicit-def: $vgpr5
                                        ; implicit-def: $vgpr9
                                        ; implicit-def: $vgpr7
	s_and_saveexec_b32 s0, vcc_lo
	s_cbranch_execz .LBB0_5
; %bb.4:
	v_add_nc_u32_e32 v0, 0x200, v30
	v_add_nc_u32_e32 v1, 0x400, v30
	ds_load_2addr_b32 v[6:7], v30 offset1:42
	ds_load_2addr_b32 v[8:9], v30 offset0:84 offset1:126
	ds_load_2addr_b32 v[4:5], v30 offset0:168 offset1:210
	;; [unrolled: 1-line block ×4, first 2 shown]
.LBB0_5:
	s_wait_alu 0xfffe
	s_or_b32 exec_lo, exec_lo, s0
	s_wait_dscnt 0x1
	v_add_f16_e32 v10, v2, v4
	s_wait_dscnt 0x0
	v_lshrrev_b32_e32 v15, 16, v0
	v_lshrrev_b32_e32 v17, 16, v8
	;; [unrolled: 1-line block ×4, first 2 shown]
	v_sub_f16_e32 v13, v8, v4
	v_sub_f16_e32 v16, v0, v2
	;; [unrolled: 1-line block ×4, first 2 shown]
	v_fma_f16 v14, -0.5, v10, v6
	v_add_f16_e32 v10, v0, v8
	v_add_f16_e32 v25, v16, v13
	v_lshrrev_b32_e32 v16, 16, v6
	v_add_f16_e32 v22, v18, v19
	v_add_f16_e32 v20, v21, v20
	;; [unrolled: 1-line block ×3, first 2 shown]
	v_sub_f16_e32 v24, v19, v18
	v_fma_f16 v10, -0.5, v10, v6
	v_fma_f16 v26, -0.5, v22, v16
	v_sub_f16_e32 v27, v4, v2
	v_fmac_f16_e32 v16, -0.5, v21
	v_sub_f16_e32 v23, v17, v15
	v_fmamk_f16 v13, v24, 0xbb9c, v10
	v_fmac_f16_e32 v10, 0x3b9c, v24
	v_sub_f16_e32 v28, v8, v0
	v_sub_f16_e32 v29, v17, v19
	;; [unrolled: 1-line block ×3, first 2 shown]
	v_fmamk_f16 v21, v27, 0x3b9c, v16
	v_sub_f16_e32 v17, v19, v17
	v_sub_f16_e32 v15, v18, v15
	v_fmac_f16_e32 v16, 0xbb9c, v27
	v_fmac_f16_e32 v13, 0x38b4, v23
	;; [unrolled: 1-line block ×4, first 2 shown]
	v_add_f16_e32 v15, v15, v17
	v_fmac_f16_e32 v16, 0x38b4, v28
	v_add_f16_e32 v33, v32, v29
	v_fmac_f16_e32 v13, 0x34f2, v20
	v_fmac_f16_e32 v10, 0x34f2, v20
	;; [unrolled: 1-line block ×4, first 2 shown]
	v_add_f16_e32 v15, v5, v3
	v_lshrrev_b32_e32 v17, 16, v1
	v_lshrrev_b32_e32 v18, 16, v9
	;; [unrolled: 1-line block ×4, first 2 shown]
	v_add_f16_e32 v29, v9, v1
	v_sub_f16_e32 v32, v1, v3
	v_sub_f16_e32 v35, v9, v5
	v_fma_f16 v34, -0.5, v15, v7
	v_add_f16_e32 v36, v18, v17
	v_fma_f16 v15, -0.5, v29, v7
	v_add_f16_e32 v29, v20, v19
	v_add_f16_e32 v35, v35, v32
	v_lshrrev_b32_e32 v32, 16, v7
	v_sub_f16_e32 v37, v20, v19
	v_sub_f16_e32 v38, v18, v17
	;; [unrolled: 1-line block ×4, first 2 shown]
	v_fma_f16 v41, -0.5, v29, v32
	v_sub_f16_e32 v43, v5, v3
	v_fmac_f16_e32 v32, -0.5, v36
	v_sub_f16_e32 v46, v9, v1
	v_fmamk_f16 v39, v37, 0xbb9c, v15
	v_fmamk_f16 v29, v38, 0xbb9c, v34
	v_add_f16_e32 v40, v42, v40
	v_fmamk_f16 v44, v43, 0x3b9c, v32
	v_sub_f16_e32 v36, v20, v18
	v_sub_f16_e32 v42, v19, v17
	v_fmac_f16_e32 v15, 0x3b9c, v37
	v_sub_f16_e32 v18, v18, v20
	v_sub_f16_e32 v17, v17, v19
	v_fmamk_f16 v19, v46, 0x3b9c, v41
	v_fmac_f16_e32 v32, 0xbb9c, v43
	v_fmac_f16_e32 v39, 0x38b4, v38
	;; [unrolled: 1-line block ×4, first 2 shown]
	v_add_f16_e32 v42, v36, v42
	v_fmac_f16_e32 v15, 0xb8b4, v38
	v_add_f16_e32 v47, v18, v17
	v_fmac_f16_e32 v19, 0x38b4, v43
	v_fmac_f16_e32 v32, 0x38b4, v46
	v_fmamk_f16 v11, v23, 0xbb9c, v14
	v_fmamk_f16 v22, v28, 0x3b9c, v26
	v_fmac_f16_e32 v39, 0x34f2, v40
	v_fmac_f16_e32 v44, 0x34f2, v42
	;; [unrolled: 1-line block ×8, first 2 shown]
	v_mul_f16_e32 v36, 0x3b9c, v44
	v_mul_f16_e32 v17, 0x34f2, v15
	v_mul_f16_e32 v18, 0x3a79, v29
	v_mul_f16_e32 v40, 0xbb9c, v39
	v_mul_f16_e32 v20, 0x34f2, v32
	v_mul_f16_e32 v45, 0x3a79, v19
	v_fmac_f16_e32 v11, 0x34f2, v25
	v_fmac_f16_e32 v22, 0x34f2, v33
	;; [unrolled: 1-line block ×3, first 2 shown]
	v_fma_f16 v39, v32, 0x3b9c, -v17
	v_fma_f16 v42, v19, 0x38b4, -v18
	v_fmac_f16_e32 v40, 0x34f2, v44
	v_fma_f16 v44, v15, 0xbb9c, -v20
	v_fma_f16 v45, v29, 0xb8b4, -v45
	v_sub_f16_e32 v17, v13, v36
	v_sub_f16_e32 v18, v10, v39
	v_sub_f16_e32 v19, v11, v42
	v_sub_f16_e32 v15, v21, v40
	v_sub_f16_e32 v20, v16, v44
	v_sub_f16_e32 v29, v22, v45
	v_mul_lo_u16 v32, v31, 10
	global_wb scope:SCOPE_SE
	s_barrier_signal -1
	s_barrier_wait -1
	global_inv scope:SCOPE_SE
	s_and_saveexec_b32 s0, vcc_lo
	s_cbranch_execz .LBB0_7
; %bb.6:
	v_mul_f16_e32 v38, 0x3b9c, v38
	v_mul_f16_e32 v46, 0x3b9c, v46
	v_mul_f16_e32 v37, 0x38b4, v37
	v_mul_f16_e32 v23, 0x3b9c, v23
	v_mul_f16_e32 v28, 0x3b9c, v28
	v_add_f16_e32 v34, v38, v34
	v_mul_f16_e32 v38, 0x38b4, v43
	v_sub_f16_e32 v41, v41, v46
	v_mul_f16_e32 v35, 0x34f2, v35
	v_mul_f16_e32 v24, 0x38b4, v24
	v_add_f16_e32 v34, v37, v34
	v_mul_f16_e32 v37, 0x34f2, v47
	v_sub_f16_e32 v38, v41, v38
	v_mul_f16_e32 v27, 0x38b4, v27
	v_sub_f16_e32 v26, v26, v28
	v_add_f16_e32 v28, v35, v34
	v_add_f16_e32 v14, v23, v14
	v_add_f16_e32 v23, v37, v38
	v_pk_add_f16 v6, v8, v6
	v_pk_add_f16 v7, v9, v7
	v_mul_f16_e32 v25, 0x34f2, v25
	v_mul_f16_e32 v33, 0x34f2, v33
	v_sub_f16_e32 v26, v26, v27
	v_mul_f16_e32 v27, 0x38b4, v28
	v_add_f16_e32 v14, v24, v14
	v_mul_f16_e32 v24, 0x38b4, v23
	v_pk_add_f16 v4, v4, v6
	v_pk_add_f16 v5, v5, v7
	v_add_f16_e32 v26, v33, v26
	v_fma_f16 v23, v23, 0x3a79, -v27
	v_add_f16_e32 v14, v25, v14
	v_fmac_f16_e32 v24, 0x3a79, v28
	v_pk_add_f16 v2, v2, v4
	v_pk_add_f16 v3, v3, v5
	v_add_f16_e32 v6, v16, v44
	v_add_f16_e32 v7, v21, v40
	;; [unrolled: 1-line block ×3, first 2 shown]
	v_and_b32_e32 v5, 0xffff, v32
	v_pk_add_f16 v16, v0, v2
	v_pk_add_f16 v21, v1, v3
	v_add_f16_e32 v1, v14, v24
	v_add_f16_e32 v2, v10, v39
	;; [unrolled: 1-line block ×3, first 2 shown]
	v_sub_f16_e32 v8, v26, v23
	v_sub_f16_e32 v9, v14, v24
	v_add_f16_e32 v22, v22, v45
	v_add_f16_e32 v11, v11, v42
	v_lshlrev_b32_e32 v13, 2, v5
	v_pk_add_f16 v0, v21, v16
	v_pack_b32_f16 v1, v1, v4
	v_pack_b32_f16 v3, v2, v6
	;; [unrolled: 1-line block ×3, first 2 shown]
	v_pk_add_f16 v5, v16, v21 neg_lo:[0,1] neg_hi:[0,1]
	v_pack_b32_f16 v6, v9, v8
	v_perm_b32 v7, v15, v17, 0x5040100
	v_pack_b32_f16 v4, v11, v22
	v_perm_b32 v9, v29, v19, 0x5040100
	v_perm_b32 v8, v20, v18, 0x5040100
	ds_store_2addr_b64 v13, v[0:1], v[2:3] offset1:1
	ds_store_2addr_b64 v13, v[4:5], v[6:7] offset0:2 offset1:3
	ds_store_b64 v13, v[8:9] offset:32
.LBB0_7:
	s_wait_alu 0xfffe
	s_or_b32 exec_lo, exec_lo, s0
	v_and_b32_e32 v0, 0xff, v31
	s_load_b128 s[4:7], s[4:5], 0x0
	global_wb scope:SCOPE_SE
	s_wait_dscnt 0x0
	s_wait_kmcnt 0x0
	s_barrier_signal -1
	s_barrier_wait -1
	v_mul_lo_u16 v0, 0xcd, v0
	global_inv scope:SCOPE_SE
	v_add_nc_u32_e32 v64, 0x400, v30
	v_cmp_gt_u16_e64 s0, 10, v31
                                        ; implicit-def: $vgpr52
                                        ; implicit-def: $vgpr54
	v_lshrrev_b16 v11, 11, v0
	s_delay_alu instid0(VALU_DEP_1) | instskip(SKIP_1) | instid1(VALU_DEP_2)
	v_mul_lo_u16 v0, v11, 10
	v_and_b32_e32 v11, 0xffff, v11
	v_sub_nc_u16 v0, v31, v0
	s_delay_alu instid0(VALU_DEP_2) | instskip(NEXT) | instid1(VALU_DEP_2)
	v_mul_u32_u24_e32 v11, 0x46, v11
	v_and_b32_e32 v16, 0xff, v0
	s_delay_alu instid0(VALU_DEP_1) | instskip(NEXT) | instid1(VALU_DEP_3)
	v_mul_u32_u24_e32 v0, 6, v16
	v_add_lshl_u32 v33, v11, v16, 2
	s_delay_alu instid0(VALU_DEP_2)
	v_lshlrev_b32_e32 v4, 2, v0
	s_clause 0x1
	global_load_b128 v[0:3], v4, s[2:3]
	global_load_b64 v[13:14], v4, s[2:3] offset:16
	v_add_nc_u32_e32 v4, 0x200, v30
	ds_load_2addr_b32 v[5:6], v30 offset1:60
	ds_load_2addr_b32 v[7:8], v30 offset0:120 offset1:180
	ds_load_b32 v21, v30 offset:1440
	ds_load_2addr_b32 v[9:10], v4 offset0:112 offset1:172
	global_wb scope:SCOPE_SE
	s_wait_loadcnt_dscnt 0x0
	s_barrier_signal -1
	s_barrier_wait -1
	global_inv scope:SCOPE_SE
	v_lshrrev_b32_e32 v23, 16, v6
	v_lshrrev_b32_e32 v24, 16, v7
	;; [unrolled: 1-line block ×13, first 2 shown]
	v_mul_f16_e32 v11, v23, v46
	v_mul_f16_e32 v16, v6, v46
	;; [unrolled: 1-line block ×12, first 2 shown]
	v_fma_f16 v6, v6, v0, -v11
	v_fmac_f16_e32 v16, v23, v0
	v_fma_f16 v7, v7, v1, -v34
	v_fmac_f16_e32 v35, v24, v1
	;; [unrolled: 2-line block ×6, first 2 shown]
	v_add_f16_e32 v21, v6, v11
	v_add_f16_e32 v23, v16, v49
	v_sub_f16_e32 v6, v6, v11
	v_sub_f16_e32 v11, v16, v49
	v_add_f16_e32 v16, v7, v10
	v_add_f16_e32 v24, v35, v47
	v_sub_f16_e32 v7, v7, v10
	v_sub_f16_e32 v10, v35, v47
	;; [unrolled: 4-line block ×4, first 2 shown]
	v_sub_f16_e32 v21, v21, v25
	v_sub_f16_e32 v23, v23, v26
	;; [unrolled: 1-line block ×4, first 2 shown]
	v_add_f16_e32 v36, v8, v7
	v_add_f16_e32 v37, v9, v10
	v_sub_f16_e32 v38, v8, v7
	v_sub_f16_e32 v39, v9, v10
	;; [unrolled: 1-line block ×4, first 2 shown]
	v_add_f16_e32 v25, v25, v27
	v_add_f16_e32 v26, v26, v28
	v_sub_f16_e32 v8, v6, v8
	v_sub_f16_e32 v9, v11, v9
	v_add_f16_e32 v6, v36, v6
	v_add_f16_e32 v11, v37, v11
	v_mul_f16_e32 v21, 0x3a52, v21
	v_mul_f16_e32 v23, 0x3a52, v23
	;; [unrolled: 1-line block ×8, first 2 shown]
	v_add_f16_e32 v5, v5, v25
	v_add_f16_e32 v22, v22, v26
	v_fmamk_f16 v16, v16, 0x2b26, v21
	v_fmamk_f16 v24, v24, 0x2b26, v23
	v_fma_f16 v27, v34, 0x39e0, -v27
	v_fma_f16 v28, v35, 0x39e0, -v28
	;; [unrolled: 1-line block ×4, first 2 shown]
	v_fmamk_f16 v34, v8, 0x3574, v36
	v_fmamk_f16 v35, v9, 0x3574, v37
	v_fma_f16 v7, v7, 0x3b00, -v36
	v_fma_f16 v10, v10, 0x3b00, -v37
	;; [unrolled: 1-line block ×4, first 2 shown]
	v_fmamk_f16 v25, v25, 0xbcab, v5
	v_fmamk_f16 v26, v26, 0xbcab, v22
	v_fmac_f16_e32 v34, 0x370e, v6
	v_fmac_f16_e32 v35, 0x370e, v11
	;; [unrolled: 1-line block ×6, first 2 shown]
	v_add_f16_e32 v6, v16, v25
	v_add_f16_e32 v11, v24, v26
	v_pack_b32_f16 v5, v5, v22
	v_add_f16_e32 v16, v27, v25
	v_add_f16_e32 v21, v21, v25
	v_add_f16_e32 v22, v23, v26
	v_add_f16_e32 v23, v28, v26
	v_add_f16_e32 v24, v35, v6
	v_sub_f16_e32 v25, v11, v34
	v_add_f16_e32 v26, v9, v21
	v_sub_f16_e32 v27, v22, v8
	v_sub_f16_e32 v28, v16, v10
	v_add_f16_e32 v36, v7, v23
	v_add_f16_e32 v10, v10, v16
	v_sub_f16_e32 v7, v23, v7
	v_sub_f16_e32 v9, v21, v9
	v_add_f16_e32 v8, v8, v22
	v_sub_f16_e32 v16, v6, v35
	v_add_f16_e32 v53, v34, v11
	v_pack_b32_f16 v6, v24, v25
	v_pack_b32_f16 v11, v26, v27
	;; [unrolled: 1-line block ×6, first 2 shown]
	ds_store_2addr_b32 v33, v5, v6 offset1:10
	ds_store_2addr_b32 v33, v11, v21 offset0:20 offset1:30
	ds_store_2addr_b32 v33, v7, v8 offset0:40 offset1:50
	ds_store_b32 v33, v9 offset:240
	global_wb scope:SCOPE_SE
	s_wait_dscnt 0x0
	s_barrier_signal -1
	s_barrier_wait -1
	global_inv scope:SCOPE_SE
	ds_load_2addr_b32 v[21:22], v30 offset1:70
	ds_load_2addr_b32 v[27:28], v30 offset0:140 offset1:210
	ds_load_2addr_b32 v[25:26], v64 offset0:24 offset1:94
                                        ; implicit-def: $vgpr23
	s_and_saveexec_b32 s1, s0
	s_cbranch_execz .LBB0_9
; %bb.8:
	ds_load_2addr_b32 v[16:17], v30 offset0:60 offset1:130
	ds_load_2addr_b32 v[18:19], v4 offset0:72 offset1:142
	;; [unrolled: 1-line block ×3, first 2 shown]
	s_wait_dscnt 0x2
	v_lshrrev_b32_e32 v53, 16, v16
	v_lshrrev_b32_e32 v15, 16, v17
	s_wait_dscnt 0x1
	v_lshrrev_b32_e32 v20, 16, v18
	v_lshrrev_b32_e32 v29, 16, v19
	;; [unrolled: 3-line block ×3, first 2 shown]
.LBB0_9:
	s_wait_alu 0xfffe
	s_or_b32 exec_lo, exec_lo, s1
	v_mad_co_u64_u32 v[4:5], null, v31, 20, s[2:3]
	v_add_nc_u32_e32 v6, 60, v31
	v_add_nc_u32_e32 v7, -10, v31
	s_wait_dscnt 0x1
	v_lshrrev_b32_e32 v36, 16, v27
	v_lshrrev_b32_e32 v37, 16, v28
	s_wait_dscnt 0x0
	v_lshrrev_b32_e32 v39, 16, v26
	v_lshrrev_b32_e32 v38, 16, v25
	s_clause 0x1
	global_load_b128 v[8:11], v[4:5], off offset:240
	global_load_b32 v40, v[4:5], off offset:256
	v_cndmask_b32_e64 v4, v7, v6, s0
	v_lshrrev_b32_e32 v57, 16, v21
	s_delay_alu instid0(VALU_DEP_2) | instskip(SKIP_1) | instid1(VALU_DEP_2)
	v_mul_i32_i24_e32 v5, 20, v4
	v_mul_hi_i32_i24_e32 v4, 20, v4
	v_add_co_u32 v34, s1, s2, v5
	s_wait_alu 0xf1ff
	s_delay_alu instid0(VALU_DEP_2)
	v_add_co_ci_u32_e64 v35, s1, s3, v4, s1
	s_clause 0x1
	global_load_b128 v[4:7], v[34:35], off offset:240
	global_load_b32 v34, v[34:35], off offset:256
	v_lshrrev_b32_e32 v35, 16, v22
	s_wait_loadcnt 0x3
	v_lshrrev_b32_e32 v51, 16, v8
	v_lshrrev_b32_e32 v50, 16, v9
	v_lshrrev_b32_e32 v49, 16, v10
	v_lshrrev_b32_e32 v48, 16, v11
	s_wait_loadcnt 0x2
	v_lshrrev_b32_e32 v47, 16, v40
	v_mul_f16_e32 v55, v35, v51
	v_mul_f16_e32 v56, v22, v51
	;; [unrolled: 1-line block ×10, first 2 shown]
	v_fma_f16 v22, v22, v8, -v55
	v_fmac_f16_e32 v56, v35, v8
	v_fma_f16 v27, v27, v9, -v58
	v_fmac_f16_e32 v59, v36, v9
	;; [unrolled: 2-line block ×3, first 2 shown]
	v_fmac_f16_e32 v63, v38, v11
	v_fma_f16 v26, v26, v40, -v65
	v_fmac_f16_e32 v66, v39, v40
	s_wait_loadcnt 0x1
	v_lshrrev_b32_e32 v36, 16, v4
	v_lshrrev_b32_e32 v39, 16, v5
	v_lshrrev_b32_e32 v38, 16, v6
	v_lshrrev_b32_e32 v35, 16, v7
	s_wait_loadcnt 0x0
	v_lshrrev_b32_e32 v37, 16, v34
	v_fma_f16 v25, v25, v11, -v62
	v_add_f16_e32 v55, v21, v27
	v_sub_f16_e32 v60, v59, v63
	v_add_f16_e32 v62, v57, v59
	v_add_f16_e32 v59, v59, v63
	;; [unrolled: 1-line block ×4, first 2 shown]
	v_sub_f16_e32 v68, v61, v66
	v_add_f16_e32 v69, v56, v61
	v_add_f16_e32 v61, v61, v66
	v_mul_f16_e32 v71, v17, v36
	v_mul_f16_e32 v72, v20, v39
	;; [unrolled: 1-line block ×9, first 2 shown]
	v_add_f16_e32 v58, v27, v25
	v_sub_f16_e32 v27, v27, v25
	v_sub_f16_e32 v28, v28, v26
	v_mul_f16_e32 v70, v15, v36
	v_add_f16_e32 v25, v55, v25
	v_fmac_f16_e32 v57, -0.5, v59
	v_add_f16_e32 v26, v65, v26
	v_fmac_f16_e32 v22, -0.5, v67
	v_fmac_f16_e32 v56, -0.5, v61
	v_fmac_f16_e32 v71, v15, v4
	v_fma_f16 v15, v18, v5, -v72
	v_fmac_f16_e32 v73, v20, v5
	v_fma_f16 v18, v19, v6, -v74
	;; [unrolled: 2-line block ×4, first 2 shown]
	v_fmac_f16_e32 v79, v54, v34
	v_fmac_f16_e32 v21, -0.5, v58
	v_add_f16_e32 v55, v62, v63
	v_add_f16_e32 v58, v69, v66
	v_fma_f16 v61, v17, v4, -v70
	v_fmamk_f16 v52, v27, 0xbaee, v57
	v_fmac_f16_e32 v57, 0x3aee, v27
	v_fmamk_f16 v24, v68, 0x3aee, v22
	v_fmac_f16_e32 v22, 0xbaee, v68
	;; [unrolled: 2-line block ×3, first 2 shown]
	v_add_f16_e32 v17, v25, v26
	v_sub_f16_e32 v20, v25, v26
	v_add_f16_e32 v26, v15, v19
	v_add_f16_e32 v59, v73, v77
	;; [unrolled: 1-line block ×4, first 2 shown]
	v_fmamk_f16 v29, v60, 0x3aee, v21
	v_fmac_f16_e32 v21, 0xbaee, v60
	v_add_f16_e32 v54, v55, v58
	v_sub_f16_e32 v55, v55, v58
	v_add_f16_e32 v25, v16, v15
	v_sub_f16_e32 v28, v73, v77
	;; [unrolled: 2-line block ×5, first 2 shown]
	v_mul_f16_e32 v67, 0x3aee, v27
	v_mul_f16_e32 v68, -0.5, v22
	v_mul_f16_e32 v69, 0xbaee, v24
	v_mul_f16_e32 v70, -0.5, v56
	v_fmac_f16_e32 v16, -0.5, v26
	v_fmac_f16_e32 v53, -0.5, v59
	;; [unrolled: 1-line block ×4, first 2 shown]
	v_add_f16_e32 v19, v25, v19
	v_add_f16_e32 v25, v58, v77
	;; [unrolled: 1-line block ×4, first 2 shown]
	v_fmac_f16_e32 v67, 0.5, v24
	v_fmac_f16_e32 v68, 0x3aee, v56
	v_fmac_f16_e32 v69, 0.5, v27
	v_fmac_f16_e32 v70, 0xbaee, v22
	v_fmamk_f16 v65, v28, 0x3aee, v16
	v_fmac_f16_e32 v16, 0xbaee, v28
	v_fmamk_f16 v28, v15, 0xbaee, v53
	;; [unrolled: 2-line block ×4, first 2 shown]
	v_fmac_f16_e32 v71, 0x3aee, v18
	v_add_f16_e32 v24, v19, v23
	v_add_f16_e32 v58, v25, v26
	v_sub_f16_e32 v23, v19, v23
	v_sub_f16_e32 v56, v25, v26
	v_add_f16_e32 v18, v29, v67
	v_add_f16_e32 v19, v21, v68
	;; [unrolled: 1-line block ×3, first 2 shown]
	v_sub_f16_e32 v26, v29, v67
	v_sub_f16_e32 v27, v21, v68
	;; [unrolled: 1-line block ×3, first 2 shown]
	v_mul_f16_e32 v21, 0x3aee, v22
	v_mul_f16_e32 v29, -0.5, v61
	v_mul_f16_e32 v52, 0xbaee, v15
	v_mul_f16_e32 v66, -0.5, v71
	v_add_f16_e32 v63, v57, v70
	v_fmac_f16_e32 v21, 0.5, v15
	v_fmac_f16_e32 v29, 0x3aee, v71
	v_fmac_f16_e32 v52, 0.5, v22
	v_fmac_f16_e32 v66, 0xbaee, v61
	v_sub_f16_e32 v57, v57, v70
	v_pack_b32_f16 v72, v17, v54
	v_pack_b32_f16 v67, v18, v59
	v_add_f16_e32 v25, v65, v21
	v_add_f16_e32 v22, v16, v29
	;; [unrolled: 1-line block ×4, first 2 shown]
	v_sub_f16_e32 v15, v65, v21
	v_sub_f16_e32 v16, v16, v29
	;; [unrolled: 1-line block ×4, first 2 shown]
	v_pack_b32_f16 v73, v20, v55
	v_pack_b32_f16 v68, v19, v63
	;; [unrolled: 1-line block ×4, first 2 shown]
	ds_store_2addr_b32 v30, v72, v67 offset1:70
	ds_store_2addr_b32 v30, v68, v73 offset0:140 offset1:210
	ds_store_2addr_b32 v64, v69, v70 offset0:24 offset1:94
	s_and_saveexec_b32 s1, s0
	s_cbranch_execz .LBB0_11
; %bb.10:
	v_perm_b32 v21, v58, v24, 0x5040100
	v_perm_b32 v28, v60, v25, 0x5040100
	;; [unrolled: 1-line block ×4, first 2 shown]
	v_add_nc_u32_e32 v65, 0x200, v30
	v_perm_b32 v66, v52, v15, 0x5040100
	v_perm_b32 v67, v53, v16, 0x5040100
	v_add_nc_u32_e32 v68, 0x400, v30
	ds_store_2addr_b32 v30, v21, v28 offset0:60 offset1:130
	ds_store_2addr_b32 v65, v29, v64 offset0:72 offset1:142
	;; [unrolled: 1-line block ×3, first 2 shown]
.LBB0_11:
	s_wait_alu 0xfffe
	s_or_b32 exec_lo, exec_lo, s1
	global_wb scope:SCOPE_SE
	s_wait_dscnt 0x0
	s_barrier_signal -1
	s_barrier_wait -1
	global_inv scope:SCOPE_SE
	s_and_saveexec_b32 s1, vcc_lo
	s_cbranch_execz .LBB0_13
; %bb.12:
	global_load_b32 v21, v30, s[12:13] offset:1680
	s_add_nc_u64 s[2:3], s[12:13], 0x690
	s_clause 0x8
	global_load_b32 v66, v30, s[2:3] offset:168
	global_load_b32 v67, v30, s[2:3] offset:336
	;; [unrolled: 1-line block ×9, first 2 shown]
	ds_load_b32 v28, v30
	s_wait_dscnt 0x0
	v_lshrrev_b32_e32 v29, 16, v28
	s_wait_loadcnt 0x7
	v_lshrrev_b32_e32 v75, 16, v67
	s_wait_loadcnt 0x6
	v_lshrrev_b32_e32 v76, 16, v68
	s_wait_loadcnt 0x5
	v_lshrrev_b32_e32 v77, 16, v69
	v_lshrrev_b32_e32 v64, 16, v21
	s_delay_alu instid0(VALU_DEP_1) | instskip(SKIP_1) | instid1(VALU_DEP_2)
	v_mul_f16_e32 v65, v29, v64
	v_mul_f16_e32 v64, v28, v64
	v_fma_f16 v28, v28, v21, -v65
	s_delay_alu instid0(VALU_DEP_2) | instskip(NEXT) | instid1(VALU_DEP_1)
	v_fmac_f16_e32 v64, v29, v21
	v_pack_b32_f16 v21, v28, v64
	ds_store_b32 v30, v21
	ds_load_2addr_b32 v[28:29], v30 offset0:42 offset1:84
	ds_load_2addr_b32 v[64:65], v30 offset0:126 offset1:168
	v_lshrrev_b32_e32 v21, 16, v66
	s_wait_dscnt 0x1
	v_lshrrev_b32_e32 v78, 16, v28
	v_lshrrev_b32_e32 v79, 16, v29
	s_wait_dscnt 0x0
	v_lshrrev_b32_e32 v80, 16, v64
	v_lshrrev_b32_e32 v81, 16, v65
	v_mul_f16_e32 v82, v28, v21
	v_mul_f16_e32 v83, v29, v75
	;; [unrolled: 1-line block ×8, first 2 shown]
	v_fmac_f16_e32 v82, v78, v66
	v_fmac_f16_e32 v83, v79, v67
	v_fma_f16 v21, v28, v66, -v21
	v_fma_f16 v28, v29, v67, -v75
	v_fmac_f16_e32 v84, v80, v68
	v_fmac_f16_e32 v85, v81, v69
	v_fma_f16 v29, v64, v68, -v76
	v_fma_f16 v64, v65, v69, -v77
	v_pack_b32_f16 v21, v21, v82
	v_pack_b32_f16 v28, v28, v83
	v_add_nc_u32_e32 v66, 0x200, v30
	v_pack_b32_f16 v29, v29, v84
	v_pack_b32_f16 v64, v64, v85
	ds_store_2addr_b32 v30, v21, v28 offset0:42 offset1:84
	ds_store_2addr_b32 v30, v29, v64 offset0:126 offset1:168
	ds_load_b32 v21, v30 offset:840
	s_wait_loadcnt 0x4
	v_lshrrev_b32_e32 v29, 16, v70
	v_add_nc_u32_e32 v67, 0x400, v30
	s_wait_loadcnt 0x1
	v_lshrrev_b32_e32 v69, 16, v73
	v_lshrrev_b32_e32 v68, 16, v72
	s_wait_dscnt 0x0
	v_lshrrev_b32_e32 v28, 16, v21
	s_delay_alu instid0(VALU_DEP_1) | instskip(SKIP_1) | instid1(VALU_DEP_2)
	v_mul_f16_e32 v64, v28, v29
	v_mul_f16_e32 v29, v21, v29
	v_fma_f16 v21, v21, v70, -v64
	s_delay_alu instid0(VALU_DEP_2) | instskip(SKIP_2) | instid1(VALU_DEP_2)
	v_fmac_f16_e32 v29, v28, v70
	s_wait_loadcnt 0x0
	v_lshrrev_b32_e32 v70, 16, v74
	v_pack_b32_f16 v21, v21, v29
	ds_store_b32 v30, v21 offset:840
	ds_load_2addr_b32 v[28:29], v66 offset0:124 offset1:166
	ds_load_2addr_b32 v[64:65], v67 offset0:80 offset1:122
	v_lshrrev_b32_e32 v21, 16, v71
	s_wait_dscnt 0x1
	v_lshrrev_b32_e32 v75, 16, v28
	v_lshrrev_b32_e32 v77, 16, v29
	s_wait_dscnt 0x0
	v_lshrrev_b32_e32 v79, 16, v64
	v_lshrrev_b32_e32 v81, 16, v65
	v_mul_f16_e32 v76, v28, v21
	v_mul_f16_e32 v78, v29, v69
	;; [unrolled: 1-line block ×8, first 2 shown]
	v_fmac_f16_e32 v76, v75, v71
	v_fmac_f16_e32 v78, v77, v73
	v_fma_f16 v21, v28, v71, -v21
	v_fma_f16 v28, v29, v73, -v69
	v_fmac_f16_e32 v80, v79, v72
	v_fmac_f16_e32 v82, v81, v74
	v_fma_f16 v29, v64, v72, -v68
	v_fma_f16 v64, v65, v74, -v70
	v_pack_b32_f16 v21, v21, v76
	v_pack_b32_f16 v28, v28, v78
	s_delay_alu instid0(VALU_DEP_4) | instskip(NEXT) | instid1(VALU_DEP_4)
	v_pack_b32_f16 v29, v29, v80
	v_pack_b32_f16 v64, v64, v82
	ds_store_2addr_b32 v66, v21, v28 offset0:124 offset1:166
	ds_store_2addr_b32 v67, v29, v64 offset0:80 offset1:122
.LBB0_13:
	s_wait_alu 0xfffe
	s_or_b32 exec_lo, exec_lo, s1
	global_wb scope:SCOPE_SE
	s_wait_dscnt 0x0
	s_barrier_signal -1
	s_barrier_wait -1
	global_inv scope:SCOPE_SE
	s_and_saveexec_b32 s1, vcc_lo
	s_cbranch_execz .LBB0_15
; %bb.14:
	v_add_nc_u32_e32 v21, 0x200, v30
	v_add_nc_u32_e32 v22, 0x400, v30
	ds_load_2addr_b32 v[17:18], v30 offset1:42
	ds_load_2addr_b32 v[19:20], v30 offset0:84 offset1:126
	ds_load_2addr_b32 v[26:27], v30 offset0:168 offset1:210
	;; [unrolled: 1-line block ×4, first 2 shown]
	s_wait_dscnt 0x4
	v_lshrrev_b32_e32 v54, 16, v17
	v_lshrrev_b32_e32 v59, 16, v18
	s_wait_dscnt 0x3
	v_lshrrev_b32_e32 v63, 16, v19
	v_lshrrev_b32_e32 v55, 16, v20
	;; [unrolled: 3-line block ×5, first 2 shown]
.LBB0_15:
	s_wait_alu 0xfffe
	s_or_b32 exec_lo, exec_lo, s1
	v_add_f16_e32 v21, v24, v26
	v_add_f16_e32 v28, v22, v19
	v_sub_f16_e32 v29, v19, v26
	v_sub_f16_e32 v64, v26, v19
	;; [unrolled: 1-line block ×3, first 2 shown]
	v_fma_f16 v70, -0.5, v21, v17
	v_sub_f16_e32 v21, v22, v24
	v_fma_f16 v67, -0.5, v28, v17
	v_sub_f16_e32 v28, v24, v22
	v_sub_f16_e32 v74, v63, v61
	v_add_f16_e32 v65, v58, v62
	v_add_f16_e32 v76, v21, v29
	v_sub_f16_e32 v29, v63, v62
	v_add_f16_e32 v21, v28, v64
	v_sub_f16_e32 v64, v61, v58
	v_fmamk_f16 v69, v75, 0x3b9c, v67
	v_fmac_f16_e32 v67, 0xbb9c, v75
	v_fma_f16 v77, -0.5, v65, v54
	v_add_f16_e32 v28, v61, v63
	v_add_f16_e32 v79, v64, v29
	;; [unrolled: 1-line block ×3, first 2 shown]
	v_fmac_f16_e32 v69, 0xb8b4, v74
	v_fmac_f16_e32 v67, 0x38b4, v74
	v_sub_f16_e32 v64, v23, v25
	v_sub_f16_e32 v65, v27, v20
	v_fma_f16 v81, -0.5, v29, v18
	v_sub_f16_e32 v29, v20, v27
	v_sub_f16_e32 v66, v25, v23
	;; [unrolled: 1-line block ×3, first 2 shown]
	v_fma_f16 v72, -0.5, v28, v54
	v_fmac_f16_e32 v69, 0x34f2, v21
	v_fmac_f16_e32 v67, 0x34f2, v21
	v_sub_f16_e32 v21, v62, v63
	v_sub_f16_e32 v28, v58, v61
	v_add_f16_e32 v83, v29, v64
	v_add_f16_e32 v64, v55, v56
	;; [unrolled: 1-line block ×4, first 2 shown]
	v_sub_f16_e32 v78, v19, v22
	v_fmamk_f16 v73, v80, 0xbb9c, v72
	v_fmac_f16_e32 v72, 0x3b9c, v80
	v_add_f16_e32 v21, v28, v21
	v_add_f16_e32 v28, v20, v23
	v_sub_f16_e32 v91, v27, v25
	v_fma_f16 v64, -0.5, v64, v59
	v_sub_f16_e32 v93, v20, v23
	v_fma_f16 v92, -0.5, v66, v59
	v_fmac_f16_e32 v73, 0x38b4, v78
	v_fmac_f16_e32 v72, 0xb8b4, v78
	v_sub_f16_e32 v86, v55, v56
	v_sub_f16_e32 v84, v57, v60
	v_fma_f16 v28, -0.5, v28, v18
	v_fmamk_f16 v88, v91, 0xbb9c, v64
	v_sub_f16_e32 v82, v57, v55
	v_sub_f16_e32 v85, v60, v56
	;; [unrolled: 1-line block ×4, first 2 shown]
	v_fmac_f16_e32 v64, 0x3b9c, v91
	v_fmamk_f16 v90, v93, 0xbb9c, v92
	v_fmac_f16_e32 v73, 0x34f2, v21
	v_fmac_f16_e32 v72, 0x34f2, v21
	v_fmamk_f16 v21, v86, 0x3b9c, v81
	v_fmamk_f16 v29, v84, 0x3b9c, v28
	v_fmac_f16_e32 v88, 0x38b4, v93
	v_add_f16_e32 v85, v82, v85
	v_fmac_f16_e32 v28, 0xbb9c, v84
	v_add_f16_e32 v94, v66, v87
	v_fmac_f16_e32 v64, 0xb8b4, v93
	v_fmac_f16_e32 v90, 0xb8b4, v91
	v_fmamk_f16 v68, v74, 0x3b9c, v70
	v_fmamk_f16 v71, v78, 0xbb9c, v77
	v_fmac_f16_e32 v21, 0x38b4, v84
	v_fmac_f16_e32 v29, 0xb8b4, v86
	;; [unrolled: 1-line block ×9, first 2 shown]
	v_mul_f16_e32 v82, 0xbb9c, v88
	v_fmac_f16_e32 v21, 0x34f2, v83
	v_fmac_f16_e32 v28, 0x34f2, v65
	v_mul_f16_e32 v85, 0xbb9c, v64
	v_mul_f16_e32 v87, 0xb8b4, v90
	;; [unrolled: 1-line block ×5, first 2 shown]
	v_fmac_f16_e32 v68, 0x34f2, v76
	v_fmac_f16_e32 v71, 0x34f2, v79
	;; [unrolled: 1-line block ×8, first 2 shown]
	v_sub_f16_e32 v21, v69, v82
	v_sub_f16_e32 v28, v67, v85
	;; [unrolled: 1-line block ×6, first 2 shown]
	global_wb scope:SCOPE_SE
	s_barrier_signal -1
	s_barrier_wait -1
	global_inv scope:SCOPE_SE
	s_and_saveexec_b32 s1, vcc_lo
	s_cbranch_execz .LBB0_17
; %bb.16:
	v_mul_f16_e32 v93, 0x3b9c, v93
	v_mul_f16_e32 v86, 0x3b9c, v86
	;; [unrolled: 1-line block ×5, first 2 shown]
	v_add_f16_e32 v92, v93, v92
	v_mul_f16_e32 v84, 0x38b4, v84
	v_mul_f16_e32 v93, 0x34f2, v94
	v_sub_f16_e32 v81, v81, v86
	v_add_f16_e32 v54, v63, v54
	v_add_f16_e32 v86, v91, v92
	;; [unrolled: 1-line block ×5, first 2 shown]
	v_mul_f16_e32 v75, 0x38b4, v75
	v_mul_f16_e32 v80, 0x38b4, v80
	;; [unrolled: 1-line block ×3, first 2 shown]
	v_add_f16_e32 v77, v78, v77
	v_sub_f16_e32 v78, v81, v84
	v_add_f16_e32 v81, v93, v86
	v_add_f16_e32 v54, v62, v54
	v_add_f16_e32 v19, v57, v55
	v_sub_f16_e32 v20, v70, v74
	v_add_f16_e32 v17, v26, v17
	v_add_f16_e32 v18, v27, v18
	v_mul_f16_e32 v63, 0x34f2, v79
	v_add_f16_e32 v77, v80, v77
	v_add_f16_e32 v78, v83, v78
	v_mul_f16_e32 v79, 0x3a79, v81
	v_mul_f16_e32 v62, 0x34f2, v76
	v_add_f16_e32 v54, v58, v54
	v_add_f16_e32 v19, v60, v19
	v_sub_f16_e32 v20, v20, v75
	v_mul_f16_e32 v26, 0x38b4, v81
	v_add_f16_e32 v17, v24, v17
	v_add_f16_e32 v18, v25, v18
	;; [unrolled: 1-line block ×3, first 2 shown]
	v_fmac_f16_e32 v79, 0x38b4, v78
	v_add_f16_e32 v54, v61, v54
	v_add_f16_e32 v19, v56, v19
	;; [unrolled: 1-line block ×3, first 2 shown]
	v_fma_f16 v24, v78, 0x3a79, -v26
	v_add_f16_e32 v17, v22, v17
	v_add_f16_e32 v18, v23, v18
	v_sub_f16_e32 v23, v54, v19
	v_add_f16_e32 v55, v72, v89
	v_sub_f16_e32 v25, v20, v24
	;; [unrolled: 2-line block ×3, first 2 shown]
	v_add_f16_e32 v57, v59, v79
	v_add_f16_e32 v19, v19, v54
	v_and_b32_e32 v32, 0xffff, v32
	v_add_f16_e32 v17, v18, v17
	v_add_f16_e32 v18, v20, v24
	v_add_f16_e32 v20, v67, v85
	v_add_f16_e32 v24, v69, v82
	v_sub_f16_e32 v22, v59, v79
	v_add_f16_e32 v27, v71, v90
	v_add_f16_e32 v54, v68, v87
	v_lshlrev_b32_e32 v32, 2, v32
	v_pack_b32_f16 v17, v17, v19
	v_pack_b32_f16 v18, v18, v57
	;; [unrolled: 1-line block ×6, first 2 shown]
	v_perm_b32 v25, v64, v21, 0x5040100
	v_pack_b32_f16 v22, v54, v27
	v_perm_b32 v27, v65, v29, 0x5040100
	v_perm_b32 v26, v66, v28, 0x5040100
	ds_store_2addr_b64 v32, v[17:18], v[19:20] offset1:1
	ds_store_2addr_b64 v32, v[22:23], v[24:25] offset0:2 offset1:3
	ds_store_b64 v32, v[26:27] offset:32
.LBB0_17:
	s_wait_alu 0xfffe
	s_or_b32 exec_lo, exec_lo, s1
	global_wb scope:SCOPE_SE
	s_wait_dscnt 0x0
	s_barrier_signal -1
	s_barrier_wait -1
	global_inv scope:SCOPE_SE
	ds_load_2addr_b32 v[17:18], v30 offset1:60
	ds_load_2addr_b32 v[22:23], v30 offset0:120 offset1:180
	v_add_nc_u32_e32 v19, 0x200, v30
	ds_load_b32 v20, v30 offset:1440
	ds_load_2addr_b32 v[24:25], v19 offset0:112 offset1:172
	global_wb scope:SCOPE_SE
	s_wait_dscnt 0x0
	s_barrier_signal -1
	s_barrier_wait -1
	global_inv scope:SCOPE_SE
	v_lshrrev_b32_e32 v27, 16, v18
	v_lshrrev_b32_e32 v32, 16, v22
	;; [unrolled: 1-line block ×3, first 2 shown]
	v_mul_f16_e32 v57, v45, v22
	v_mul_f16_e32 v56, v46, v18
	v_lshrrev_b32_e32 v55, 16, v20
	v_lshrrev_b32_e32 v61, 16, v25
	v_mul_f16_e32 v45, v45, v32
	v_mul_f16_e32 v58, v44, v23
	;; [unrolled: 1-line block ×3, first 2 shown]
	v_lshrrev_b32_e32 v60, 16, v24
	v_mul_f16_e32 v46, v46, v27
	v_fma_f16 v32, v1, v32, -v57
	v_mul_f16_e32 v44, v44, v54
	v_mul_f16_e32 v57, v41, v25
	;; [unrolled: 1-line block ×3, first 2 shown]
	v_fmac_f16_e32 v45, v1, v22
	v_mul_f16_e32 v1, v41, v61
	v_fma_f16 v27, v0, v27, -v56
	v_fma_f16 v54, v2, v54, -v58
	v_mul_f16_e32 v56, v42, v24
	v_fmac_f16_e32 v46, v0, v18
	v_mul_f16_e32 v0, v42, v60
	v_fmac_f16_e32 v44, v2, v23
	v_fmac_f16_e32 v43, v14, v20
	v_fma_f16 v2, v14, v55, -v59
	v_fmac_f16_e32 v1, v13, v25
	v_fma_f16 v13, v13, v61, -v57
	v_fmac_f16_e32 v0, v3, v24
	v_fma_f16 v3, v3, v60, -v56
	v_add_f16_e32 v14, v46, v43
	v_add_f16_e32 v18, v27, v2
	;; [unrolled: 1-line block ×4, first 2 shown]
	v_sub_f16_e32 v2, v27, v2
	v_sub_f16_e32 v1, v45, v1
	;; [unrolled: 1-line block ×3, first 2 shown]
	v_add_f16_e32 v24, v44, v0
	v_add_f16_e32 v25, v54, v3
	v_sub_f16_e32 v0, v0, v44
	v_sub_f16_e32 v3, v3, v54
	v_add_f16_e32 v27, v22, v14
	v_add_f16_e32 v32, v23, v18
	v_sub_f16_e32 v20, v46, v43
	v_lshrrev_b32_e32 v26, 16, v17
	v_sub_f16_e32 v41, v22, v14
	v_sub_f16_e32 v42, v23, v18
	;; [unrolled: 1-line block ×6, first 2 shown]
	v_add_f16_e32 v43, v0, v1
	v_add_f16_e32 v44, v3, v13
	v_sub_f16_e32 v45, v0, v1
	v_sub_f16_e32 v46, v3, v13
	v_add_f16_e32 v24, v24, v27
	v_add_f16_e32 v25, v25, v32
	v_sub_f16_e32 v1, v1, v20
	v_sub_f16_e32 v13, v13, v2
	;; [unrolled: 1-line block ×4, first 2 shown]
	v_add_f16_e32 v20, v43, v20
	v_add_f16_e32 v2, v44, v2
	;; [unrolled: 1-line block ×4, first 2 shown]
	v_mul_f16_e32 v14, 0x3a52, v14
	v_mul_f16_e32 v17, 0x3a52, v18
	;; [unrolled: 1-line block ×8, first 2 shown]
	v_fmamk_f16 v24, v24, 0xbcab, v27
	v_fmamk_f16 v25, v25, 0xbcab, v26
	;; [unrolled: 1-line block ×4, first 2 shown]
	v_fma_f16 v18, v41, 0x39e0, -v18
	v_fma_f16 v32, v42, 0x39e0, -v32
	;; [unrolled: 1-line block ×4, first 2 shown]
	v_fmamk_f16 v41, v0, 0xb574, v43
	v_fmamk_f16 v42, v3, 0xb574, v44
	v_fma_f16 v1, v1, 0xbb00, -v43
	v_fma_f16 v13, v13, 0xbb00, -v44
	;; [unrolled: 1-line block ×4, first 2 shown]
	v_add_f16_e32 v22, v22, v24
	v_add_f16_e32 v23, v23, v25
	v_fmac_f16_e32 v41, 0xb70e, v20
	v_fmac_f16_e32 v42, 0xb70e, v2
	v_add_f16_e32 v18, v18, v24
	v_add_f16_e32 v32, v32, v25
	;; [unrolled: 1-line block ×4, first 2 shown]
	v_fmac_f16_e32 v1, 0xb70e, v20
	v_fmac_f16_e32 v3, 0xb70e, v2
	;; [unrolled: 1-line block ×4, first 2 shown]
	v_add_f16_e32 v2, v42, v22
	v_sub_f16_e32 v24, v23, v41
	v_add_f16_e32 v25, v3, v14
	v_sub_f16_e32 v43, v17, v0
	v_sub_f16_e32 v44, v18, v13
	v_add_f16_e32 v45, v1, v32
	v_add_f16_e32 v13, v13, v18
	v_sub_f16_e32 v1, v32, v1
	v_sub_f16_e32 v3, v14, v3
	v_add_f16_e32 v0, v0, v17
	v_sub_f16_e32 v20, v22, v42
	v_add_f16_e32 v17, v41, v23
	v_pack_b32_f16 v14, v27, v26
	v_pack_b32_f16 v2, v2, v24
	;; [unrolled: 1-line block ×7, first 2 shown]
	ds_store_2addr_b32 v33, v14, v2 offset1:10
	ds_store_2addr_b32 v33, v18, v22 offset0:20 offset1:30
	ds_store_2addr_b32 v33, v1, v0 offset0:40 offset1:50
	ds_store_b32 v33, v3 offset:240
	v_add_nc_u32_e32 v18, 0x400, v30
	global_wb scope:SCOPE_SE
	s_wait_dscnt 0x0
	s_barrier_signal -1
	s_barrier_wait -1
	global_inv scope:SCOPE_SE
	ds_load_2addr_b32 v[0:1], v30 offset1:70
	ds_load_2addr_b32 v[13:14], v30 offset0:140 offset1:210
	ds_load_2addr_b32 v[2:3], v18 offset0:24 offset1:94
	s_and_saveexec_b32 s1, s0
	s_cbranch_execz .LBB0_19
; %bb.18:
	ds_load_2addr_b32 v[20:21], v30 offset0:60 offset1:130
	ds_load_2addr_b32 v[28:29], v19 offset0:72 offset1:142
	;; [unrolled: 1-line block ×3, first 2 shown]
	s_wait_dscnt 0x2
	v_lshrrev_b32_e32 v17, 16, v20
	v_lshrrev_b32_e32 v64, 16, v21
	s_wait_dscnt 0x1
	v_lshrrev_b32_e32 v66, 16, v28
	v_lshrrev_b32_e32 v65, 16, v29
	;; [unrolled: 3-line block ×3, first 2 shown]
.LBB0_19:
	s_wait_alu 0xfffe
	s_or_b32 exec_lo, exec_lo, s1
	s_wait_dscnt 0x2
	v_lshrrev_b32_e32 v19, 16, v1
	s_wait_dscnt 0x1
	v_lshrrev_b32_e32 v23, 16, v13
	v_lshrrev_b32_e32 v24, 16, v14
	s_wait_dscnt 0x0
	v_lshrrev_b32_e32 v25, 16, v2
	v_mul_f16_e32 v27, v51, v1
	v_mul_f16_e32 v26, v51, v19
	;; [unrolled: 1-line block ×4, first 2 shown]
	v_lshrrev_b32_e32 v32, 16, v3
	v_lshrrev_b32_e32 v22, 16, v0
	v_fmac_f16_e32 v26, v8, v1
	v_fma_f16 v1, v8, v19, -v27
	v_mul_f16_e32 v8, v49, v24
	v_fmac_f16_e32 v33, v9, v13
	v_mul_f16_e32 v13, v48, v25
	v_mul_f16_e32 v19, v49, v14
	v_fma_f16 v9, v9, v23, -v41
	v_fmac_f16_e32 v8, v10, v14
	v_mul_f16_e32 v14, v48, v2
	v_fmac_f16_e32 v13, v11, v2
	v_mul_f16_e32 v2, v47, v32
	v_fma_f16 v10, v10, v24, -v19
	v_mul_f16_e32 v19, v47, v3
	v_fma_f16 v11, v11, v25, -v14
	v_add_f16_e32 v14, v33, v13
	v_fmac_f16_e32 v2, v40, v3
	v_add_f16_e32 v3, v0, v33
	v_fma_f16 v19, v40, v32, -v19
	v_add_f16_e32 v23, v9, v11
	v_fmac_f16_e32 v0, -0.5, v14
	v_sub_f16_e32 v14, v9, v11
	v_add_f16_e32 v9, v22, v9
	v_add_f16_e32 v3, v3, v13
	v_fmac_f16_e32 v22, -0.5, v23
	v_sub_f16_e32 v13, v33, v13
	v_fmamk_f16 v23, v14, 0xbaee, v0
	v_fmac_f16_e32 v0, 0x3aee, v14
	v_add_f16_e32 v14, v10, v19
	v_add_f16_e32 v24, v8, v2
	;; [unrolled: 1-line block ×4, first 2 shown]
	v_fmamk_f16 v11, v13, 0x3aee, v22
	v_fmac_f16_e32 v1, -0.5, v14
	v_sub_f16_e32 v14, v8, v2
	v_add_f16_e32 v8, v26, v8
	v_fmac_f16_e32 v26, -0.5, v24
	v_sub_f16_e32 v10, v10, v19
	v_fmac_f16_e32 v22, 0xbaee, v13
	v_fmamk_f16 v13, v14, 0x3aee, v1
	v_fmac_f16_e32 v1, 0xbaee, v14
	v_add_f16_e32 v2, v8, v2
	v_fmamk_f16 v8, v10, 0xbaee, v26
	v_fmac_f16_e32 v26, 0x3aee, v10
	v_mul_f16_e32 v10, 0xbaee, v13
	v_mul_f16_e32 v13, 0.5, v13
	v_mul_f16_e32 v14, 0xbaee, v1
	v_mul_f16_e32 v1, -0.5, v1
	v_add_f16_e32 v19, v25, v19
	v_fmac_f16_e32 v10, 0.5, v8
	v_fmac_f16_e32 v13, 0x3aee, v8
	v_fmac_f16_e32 v14, -0.5, v26
	v_fmac_f16_e32 v1, 0x3aee, v26
	v_add_f16_e32 v24, v3, v2
	v_add_f16_e32 v8, v23, v10
	;; [unrolled: 1-line block ×6, first 2 shown]
	v_sub_f16_e32 v2, v3, v2
	v_sub_f16_e32 v9, v9, v19
	;; [unrolled: 1-line block ×6, first 2 shown]
	v_pack_b32_f16 v11, v24, v26
	v_pack_b32_f16 v8, v8, v27
	;; [unrolled: 1-line block ×6, first 2 shown]
	ds_store_2addr_b32 v30, v11, v8 offset1:70
	ds_store_2addr_b32 v30, v13, v2 offset0:140 offset1:210
	ds_store_2addr_b32 v18, v3, v0 offset0:24 offset1:94
	s_and_saveexec_b32 s1, s0
	s_cbranch_execz .LBB0_21
; %bb.20:
	v_mul_f16_e32 v3, v38, v29
	v_mul_f16_e32 v9, v37, v16
	;; [unrolled: 1-line block ×6, first 2 shown]
	v_fma_f16 v3, v6, v65, -v3
	v_mul_f16_e32 v13, v36, v21
	v_fma_f16 v9, v34, v53, -v9
	v_mul_f16_e32 v2, v39, v66
	v_fma_f16 v0, v5, v66, -v0
	v_fma_f16 v1, v7, v52, -v1
	v_mul_f16_e32 v14, v36, v64
	v_fmac_f16_e32 v8, v6, v29
	v_fmac_f16_e32 v10, v34, v16
	v_fma_f16 v6, v4, v64, -v13
	v_add_f16_e32 v13, v3, v9
	v_mul_f16_e32 v16, v35, v52
	v_add_f16_e32 v11, v0, v1
	v_fmac_f16_e32 v14, v4, v21
	v_add_f16_e32 v4, v8, v10
	v_fmac_f16_e32 v2, v5, v28
	v_fma_f16 v5, -0.5, v13, v6
	v_sub_f16_e32 v13, v8, v10
	v_fmac_f16_e32 v16, v7, v15
	v_fma_f16 v4, -0.5, v4, v14
	v_sub_f16_e32 v7, v3, v9
	v_fma_f16 v11, -0.5, v11, v17
	v_fmamk_f16 v15, v13, 0xbaee, v5
	v_fmac_f16_e32 v5, 0x3aee, v13
	v_add_f16_e32 v17, v17, v0
	v_add_f16_e32 v22, v2, v16
	v_sub_f16_e32 v18, v2, v16
	v_fmamk_f16 v19, v7, 0x3aee, v4
	v_fmac_f16_e32 v4, 0xbaee, v7
	v_mul_f16_e32 v7, 0.5, v5
	v_add_f16_e32 v3, v6, v3
	v_add_f16_e32 v6, v17, v1
	v_fma_f16 v17, -0.5, v22, v20
	v_sub_f16_e32 v0, v0, v1
	v_add_f16_e32 v2, v20, v2
	v_add_f16_e32 v8, v14, v8
	v_mul_f16_e32 v5, 0xbaee, v5
	v_mul_f16_e32 v13, -0.5, v15
	v_mul_f16_e32 v1, 0xbaee, v15
	v_fmamk_f16 v21, v18, 0xbaee, v11
	v_fmac_f16_e32 v11, 0x3aee, v18
	v_fmac_f16_e32 v7, 0x3aee, v4
	v_add_f16_e32 v3, v3, v9
	v_fmamk_f16 v18, v0, 0x3aee, v17
	v_fmac_f16_e32 v17, 0xbaee, v0
	v_add_f16_e32 v0, v2, v16
	v_add_f16_e32 v2, v8, v10
	v_fmac_f16_e32 v5, 0.5, v4
	v_fmac_f16_e32 v13, 0x3aee, v19
	v_fmac_f16_e32 v1, -0.5, v19
	v_sub_f16_e32 v15, v11, v7
	v_sub_f16_e32 v19, v6, v3
	v_add_f16_e32 v7, v11, v7
	v_add_f16_e32 v3, v6, v3
	;; [unrolled: 1-line block ×4, first 2 shown]
	v_sub_f16_e32 v14, v18, v1
	v_add_f16_e32 v4, v21, v13
	v_add_f16_e32 v1, v18, v1
	v_sub_f16_e32 v0, v0, v2
	v_sub_f16_e32 v9, v21, v13
	;; [unrolled: 1-line block ×3, first 2 shown]
	v_pack_b32_f16 v3, v6, v3
	v_pack_b32_f16 v5, v8, v7
	;; [unrolled: 1-line block ×4, first 2 shown]
	v_add_nc_u32_e32 v4, 0x200, v30
	v_pack_b32_f16 v2, v2, v15
	v_pack_b32_f16 v6, v14, v9
	v_add_nc_u32_e32 v7, 0x400, v30
	ds_store_2addr_b32 v30, v3, v5 offset0:60 offset1:130
	ds_store_2addr_b32 v4, v1, v0 offset0:72 offset1:142
	;; [unrolled: 1-line block ×3, first 2 shown]
.LBB0_21:
	s_wait_alu 0xfffe
	s_or_b32 exec_lo, exec_lo, s1
	global_wb scope:SCOPE_SE
	s_wait_dscnt 0x0
	s_barrier_signal -1
	s_barrier_wait -1
	global_inv scope:SCOPE_SE
	s_and_b32 exec_lo, exec_lo, vcc_lo
	s_cbranch_execz .LBB0_23
; %bb.22:
	s_clause 0x6
	global_load_b32 v2, v30, s[12:13]
	global_load_b32 v3, v30, s[12:13] offset:168
	global_load_b32 v7, v30, s[12:13] offset:336
	;; [unrolled: 1-line block ×6, first 2 shown]
	ds_load_2addr_b32 v[9:10], v30 offset1:210
	ds_load_2addr_b32 v[13:14], v30 offset0:42 offset1:84
	v_mad_co_u64_u32 v[15:16], null, s6, v12, 0
	ds_load_2addr_b32 v[17:18], v30 offset0:126 offset1:168
	v_add_nc_u32_e32 v0, 0x200, v30
	v_mad_co_u64_u32 v[19:20], null, s4, v31, 0
	s_mov_b32 s22, 0x13813814
	s_mov_b32 s23, 0x3f638138
	v_mov_b32_e32 v11, v16
	s_clause 0x2
	global_load_b32 v4, v30, s[12:13] offset:1176
	global_load_b32 v5, v30, s[12:13] offset:1344
	;; [unrolled: 1-line block ×3, first 2 shown]
	ds_load_2addr_b32 v[0:1], v0 offset0:124 offset1:166
	v_mov_b32_e32 v16, v20
	v_mad_co_u64_u32 v[11:12], null, s7, v12, v[11:12]
	s_mul_u64 s[20:21], s[4:5], 0xa8
	s_wait_dscnt 0x3
	v_lshrrev_b32_e32 v12, 16, v9
	s_wait_dscnt 0x2
	v_lshrrev_b32_e32 v22, 16, v14
	s_wait_dscnt 0x1
	v_mad_co_u64_u32 v[20:21], null, s5, v31, v[16:17]
	v_lshrrev_b32_e32 v21, 16, v13
	v_mov_b32_e32 v16, v11
	v_lshrrev_b32_e32 v27, 16, v17
	v_lshrrev_b32_e32 v28, 16, v18
	;; [unrolled: 1-line block ×3, first 2 shown]
	s_delay_alu instid0(VALU_DEP_4)
	v_lshlrev_b64_e32 v[15:16], 2, v[15:16]
	v_lshlrev_b64_e32 v[19:20], 2, v[19:20]
	s_wait_loadcnt 0x9
	v_lshrrev_b32_e32 v23, 16, v2
	s_wait_loadcnt 0x8
	v_lshrrev_b32_e32 v11, 16, v3
	;; [unrolled: 2-line block ×5, first 2 shown]
	v_mul_f16_e32 v33, v12, v23
	v_mul_f16_e32 v23, v9, v23
	;; [unrolled: 1-line block ×4, first 2 shown]
	s_wait_loadcnt 0x4
	v_lshrrev_b32_e32 v35, 16, v26
	v_fmac_f16_e32 v33, v9, v2
	v_mul_f16_e32 v9, v13, v11
	v_fma_f16 v2, v2, v12, -v23
	v_fmac_f16_e32 v36, v13, v3
	v_mul_f16_e32 v23, v14, v24
	v_cvt_f32_f16_e32 v11, v33
	v_fma_f16 v9, v3, v21, -v9
	v_cvt_f32_f16_e32 v2, v2
	v_cvt_f32_f16_e32 v13, v36
	v_fmac_f16_e32 v37, v14, v7
	v_cvt_f64_f32_e32 v[11:12], v11
	v_cvt_f32_f16_e32 v9, v9
	v_cvt_f64_f32_e32 v[2:3], v2
	v_cvt_f64_f32_e32 v[13:14], v13
	v_mul_f16_e32 v33, v27, v32
	v_fma_f16 v7, v7, v22, -v23
	v_cvt_f32_f16_e32 v23, v37
	v_cvt_f64_f32_e32 v[21:22], v9
	v_mul_f16_e32 v32, v17, v32
	v_fmac_f16_e32 v33, v17, v8
	v_cvt_f32_f16_e32 v7, v7
	v_cvt_f64_f32_e32 v[23:24], v23
	v_mul_f16_e32 v36, v28, v34
	v_mul_f16_e32 v37, v31, v35
	v_fma_f16 v9, v8, v27, -v32
	v_cvt_f32_f16_e32 v27, v33
	v_cvt_f64_f32_e32 v[7:8], v7
	v_mul_f16_e32 v34, v18, v34
	v_mul_f16_e32 v17, v10, v35
	v_fmac_f16_e32 v36, v18, v25
	v_cvt_f32_f16_e32 v18, v9
	v_fmac_f16_e32 v37, v10, v26
	v_cvt_f64_f32_e32 v[9:10], v27
	v_fma_f16 v25, v25, v28, -v34
	v_fma_f16 v26, v26, v31, -v17
	v_cvt_f32_f16_e32 v27, v36
	v_cvt_f64_f32_e32 v[17:18], v18
	v_cvt_f32_f16_e32 v31, v37
	v_cvt_f32_f16_e32 v28, v25
	;; [unrolled: 1-line block ×3, first 2 shown]
	v_cvt_f64_f32_e32 v[25:26], v27
	v_add_co_u32 v37, vcc_lo, s8, v15
	s_delay_alu instid0(VALU_DEP_4)
	v_cvt_f64_f32_e32 v[27:28], v28
	v_cvt_f64_f32_e32 v[31:32], v31
	v_add_co_ci_u32_e32 v38, vcc_lo, s9, v16, vcc_lo
	v_cvt_f64_f32_e32 v[33:34], v33
	v_mul_f64_e32 v[11:12], s[22:23], v[11:12]
	s_wait_dscnt 0x0
	v_lshrrev_b32_e32 v35, 16, v0
	v_mul_f64_e32 v[2:3], s[22:23], v[2:3]
	v_mul_f64_e32 v[13:14], s[22:23], v[13:14]
	s_wait_loadcnt 0x3
	v_lshrrev_b32_e32 v36, 16, v29
	v_add_co_u32 v19, vcc_lo, v37, v19
	v_mul_f64_e32 v[15:16], s[22:23], v[21:22]
	s_wait_alu 0xfffd
	v_add_co_ci_u32_e32 v20, vcc_lo, v38, v20, vcc_lo
	v_mul_f16_e32 v39, v35, v36
	v_mul_f64_e32 v[21:22], s[22:23], v[23:24]
	v_mul_f16_e32 v36, v0, v36
	v_add_co_u32 v23, vcc_lo, v19, s20
	s_delay_alu instid0(VALU_DEP_4) | instskip(SKIP_1) | instid1(VALU_DEP_4)
	v_fmac_f16_e32 v39, v0, v29
	v_mul_f64_e32 v[7:8], s[22:23], v[7:8]
	v_fma_f16 v0, v29, v35, -v36
	s_wait_alu 0xfffd
	v_add_co_ci_u32_e32 v24, vcc_lo, s21, v20, vcc_lo
	v_cvt_f32_f16_e32 v29, v39
	v_add_co_u32 v35, vcc_lo, v23, s20
	v_mul_f64_e32 v[9:10], s[22:23], v[9:10]
	v_cvt_f32_f16_e32 v0, v0
	s_wait_alu 0xfffd
	v_add_co_ci_u32_e32 v36, vcc_lo, s21, v24, vcc_lo
	v_mul_f64_e32 v[17:18], s[22:23], v[17:18]
	v_cvt_f64_f32_e32 v[37:38], v29
	v_cvt_f64_f32_e32 v[39:40], v0
	v_mul_f64_e32 v[25:26], s[22:23], v[25:26]
	v_mul_f64_e32 v[27:28], s[22:23], v[27:28]
	;; [unrolled: 1-line block ×4, first 2 shown]
	v_and_or_b32 v0, 0x1ff, v12, v11
	v_lshrrev_b32_e32 v11, 8, v12
	v_and_or_b32 v2, 0x1ff, v3, v2
	v_and_or_b32 v13, 0x1ff, v14, v13
	v_bfe_u32 v29, v12, 20, 11
	v_cmp_ne_u32_e32 vcc_lo, 0, v0
	v_lshrrev_b32_e32 v41, 8, v3
	v_and_or_b32 v15, 0x1ff, v16, v15
	v_bfe_u32 v42, v3, 20, 11
	v_sub_nc_u32_e32 v63, 0x3f1, v29
	s_wait_alu 0xfffd
	v_cndmask_b32_e64 v0, 0, 1, vcc_lo
	v_cmp_ne_u32_e32 vcc_lo, 0, v2
	v_and_or_b32 v21, 0x1ff, v22, v21
	v_lshrrev_b32_e32 v43, 8, v14
	v_bfe_u32 v44, v14, 20, 11
	v_and_or_b32 v0, 0xffe, v11, v0
	s_wait_alu 0xfffd
	v_cndmask_b32_e64 v2, 0, 1, vcc_lo
	v_cmp_ne_u32_e32 vcc_lo, 0, v13
	v_and_or_b32 v7, 0x1ff, v8, v7
	v_med3_i32 v11, v63, 0, 13
	v_or_b32_e32 v63, 0x1000, v0
	v_bfe_u32 v46, v16, 20, 11
	s_wait_alu 0xfffd
	v_cndmask_b32_e64 v13, 0, 1, vcc_lo
	v_cmp_ne_u32_e32 vcc_lo, 0, v15
	v_and_or_b32 v9, 0x1ff, v10, v9
	v_lshrrev_b32_e32 v86, v11, v63
	v_add_nc_u32_e32 v29, 0xfffffc10, v29
	v_and_or_b32 v17, 0x1ff, v18, v17
	s_wait_alu 0xfffd
	v_cndmask_b32_e64 v15, 0, 1, vcc_lo
	v_cmp_ne_u32_e32 vcc_lo, 0, v21
	v_and_or_b32 v25, 0x1ff, v26, v25
	v_lshlrev_b32_e32 v11, v11, v86
	v_sub_nc_u32_e32 v64, 0x3f1, v42
	v_and_or_b32 v27, 0x1ff, v28, v27
	s_wait_alu 0xfffd
	v_cndmask_b32_e64 v21, 0, 1, vcc_lo
	v_cmp_ne_u32_e32 vcc_lo, 0, v7
	v_and_or_b32 v31, 0x1ff, v32, v31
	v_and_or_b32 v33, 0x1ff, v34, v33
	v_cmp_ne_u32_e64 s3, v11, v63
	v_and_or_b32 v2, 0xffe, v41, v2
	s_wait_alu 0xfffd
	v_cndmask_b32_e64 v7, 0, 1, vcc_lo
	v_cmp_ne_u32_e32 vcc_lo, 0, v9
	v_lshrrev_b32_e32 v45, 8, v16
	s_wait_alu 0xf1ff
	v_cndmask_b32_e64 v11, 0, 1, s3
	v_bfe_u32 v48, v22, 20, 11
	v_bfe_u32 v50, v8, 20, 11
	s_wait_alu 0xfffd
	v_cndmask_b32_e64 v9, 0, 1, vcc_lo
	v_cmp_ne_u32_e32 vcc_lo, 0, v17
	v_sub_nc_u32_e32 v65, 0x3f1, v44
	v_sub_nc_u32_e32 v66, 0x3f1, v46
	v_med3_i32 v41, v64, 0, 13
	v_and_or_b32 v13, 0xffe, v43, v13
	s_wait_alu 0xfffd
	v_cndmask_b32_e64 v17, 0, 1, vcc_lo
	v_cmp_ne_u32_e32 vcc_lo, 0, v25
	v_lshl_or_b32 v64, v29, 12, v0
	v_or_b32_e32 v11, v86, v11
	v_add_nc_u32_e32 v42, 0xfffffc10, v42
	v_lshrrev_b32_e32 v47, 8, v22
	s_wait_alu 0xfffd
	v_cndmask_b32_e64 v25, 0, 1, vcc_lo
	v_cmp_ne_u32_e32 vcc_lo, 0, v27
	v_lshrrev_b32_e32 v49, 8, v8
	v_bfe_u32 v52, v10, 20, 11
	v_bfe_u32 v54, v18, 20, 11
	v_sub_nc_u32_e32 v67, 0x3f1, v48
	s_wait_alu 0xfffd
	v_cndmask_b32_e64 v27, 0, 1, vcc_lo
	v_cmp_ne_u32_e32 vcc_lo, 0, v31
	v_sub_nc_u32_e32 v68, 0x3f1, v50
	v_med3_i32 v43, v65, 0, 13
	v_and_or_b32 v15, 0xffe, v45, v15
	v_med3_i32 v45, v66, 0, 13
	s_wait_alu 0xfffd
	v_cndmask_b32_e64 v31, 0, 1, vcc_lo
	v_cmp_ne_u32_e32 vcc_lo, 0, v33
	v_or_b32_e32 v65, 0x1000, v2
	v_lshl_or_b32 v66, v42, 12, v2
	v_add_nc_u32_e32 v44, 0xfffffc10, v44
	v_lshrrev_b32_e32 v51, 8, v10
	s_wait_alu 0xfffd
	v_cndmask_b32_e64 v33, 0, 1, vcc_lo
	v_cmp_ne_u32_e32 vcc_lo, 0, v0
	v_lshrrev_b32_e32 v53, 8, v18
	v_bfe_u32 v56, v26, 20, 11
	v_bfe_u32 v58, v28, 20, 11
	v_sub_nc_u32_e32 v69, 0x3f1, v52
	s_wait_alu 0xfffd
	v_cndmask_b32_e64 v0, 0, 1, vcc_lo
	v_cmp_ne_u32_e32 vcc_lo, 0, v2
	v_sub_nc_u32_e32 v70, 0x3f1, v54
	v_and_or_b32 v21, 0xffe, v47, v21
	v_med3_i32 v47, v67, 0, 13
	v_and_or_b32 v7, 0xffe, v49, v7
	s_wait_alu 0xfffd
	v_cndmask_b32_e64 v2, 0, 1, vcc_lo
	v_cmp_ne_u32_e32 vcc_lo, 0, v13
	v_med3_i32 v49, v68, 0, 13
	v_or_b32_e32 v67, 0x1000, v13
	v_lshl_or_b32 v68, v44, 12, v13
	v_add_nc_u32_e32 v46, 0xfffffc10, v46
	s_wait_alu 0xfffd
	v_cndmask_b32_e64 v13, 0, 1, vcc_lo
	v_cmp_ne_u32_e32 vcc_lo, 0, v15
	v_lshrrev_b32_e32 v55, 8, v26
	v_lshrrev_b32_e32 v57, 8, v28
	v_bfe_u32 v60, v32, 20, 11
	v_bfe_u32 v62, v34, 20, 11
	v_sub_nc_u32_e32 v71, 0x3f1, v56
	v_sub_nc_u32_e32 v72, 0x3f1, v58
	v_and_or_b32 v9, 0xffe, v51, v9
	v_med3_i32 v51, v69, 0, 13
	v_and_or_b32 v17, 0xffe, v53, v17
	v_med3_i32 v53, v70, 0, 13
	v_or_b32_e32 v69, 0x1000, v15
	v_lshl_or_b32 v70, v46, 12, v15
	v_add_nc_u32_e32 v48, 0xfffffc10, v48
	s_wait_alu 0xfffd
	v_cndmask_b32_e64 v15, 0, 1, vcc_lo
	v_cmp_ne_u32_e32 vcc_lo, 0, v21
	v_lshrrev_b32_e32 v59, 8, v32
	v_lshrrev_b32_e32 v61, 8, v34
	v_sub_nc_u32_e32 v73, 0x3f1, v60
	v_sub_nc_u32_e32 v74, 0x3f1, v62
	v_and_or_b32 v25, 0xffe, v55, v25
	v_med3_i32 v55, v71, 0, 13
	v_and_or_b32 v27, 0xffe, v57, v27
	v_med3_i32 v57, v72, 0, 13
	v_or_b32_e32 v71, 0x1000, v21
	v_lshl_or_b32 v72, v48, 12, v21
	v_add_nc_u32_e32 v50, 0xfffffc10, v50
	s_wait_alu 0xfffd
	v_cndmask_b32_e64 v21, 0, 1, vcc_lo
	v_cmp_ne_u32_e32 vcc_lo, 0, v7
	v_and_or_b32 v31, 0xffe, v59, v31
	v_med3_i32 v59, v73, 0, 13
	v_and_or_b32 v33, 0xffe, v61, v33
	v_med3_i32 v61, v74, 0, 13
	v_or_b32_e32 v73, 0x1000, v7
	v_lshl_or_b32 v74, v50, 12, v7
	v_add_nc_u32_e32 v52, 0xfffffc10, v52
	s_wait_alu 0xfffd
	v_cndmask_b32_e64 v7, 0, 1, vcc_lo
	v_cmp_ne_u32_e32 vcc_lo, 0, v9
	v_or_b32_e32 v75, 0x1000, v9
	v_or_b32_e32 v77, 0x1000, v17
	v_lshl_or_b32 v76, v52, 12, v9
	v_add_nc_u32_e32 v54, 0xfffffc10, v54
	s_wait_alu 0xfffd
	v_cndmask_b32_e64 v9, 0, 1, vcc_lo
	v_cmp_ne_u32_e32 vcc_lo, 0, v17
	v_lshrrev_b32_e32 v83, v41, v65
	v_or_b32_e32 v79, 0x1000, v25
	v_lshl_or_b32 v78, v54, 12, v17
	v_add_nc_u32_e32 v56, 0xfffffc10, v56
	s_wait_alu 0xfffd
	v_cndmask_b32_e64 v17, 0, 1, vcc_lo
	v_cmp_ne_u32_e32 vcc_lo, 0, v25
	v_lshlrev_b32_e32 v41, v41, v83
	v_lshrrev_b32_e32 v87, v45, v69
	v_lshl_or_b32 v80, v56, 12, v25
	v_add_nc_u32_e32 v58, 0xfffffc10, v58
	s_wait_alu 0xfffd
	v_cndmask_b32_e64 v25, 0, 1, vcc_lo
	v_cmp_ne_u32_e32 vcc_lo, 0, v27
	v_or_b32_e32 v81, 0x1000, v27
	v_lshl_or_b32 v0, v0, 9, 0x7c00
	v_lshl_or_b32 v82, v58, 12, v27
	v_lshlrev_b32_e32 v45, v45, v87
	s_wait_alu 0xfffd
	v_cndmask_b32_e64 v27, 0, 1, vcc_lo
	v_cmp_ne_u32_e32 vcc_lo, v41, v65
	v_lshrrev_b32_e32 v41, v49, v73
	v_lshrrev_b32_e32 v65, v43, v67
	v_lshl_or_b32 v2, v2, 9, 0x7c00
	v_cmp_ne_u32_e64 s0, v45, v69
	v_lshrrev_b32_e32 v45, v47, v71
	v_lshlrev_b32_e32 v49, v49, v41
	v_lshlrev_b32_e32 v43, v43, v65
	v_lshrrev_b32_e32 v69, v53, v77
	s_wait_alu 0xfffd
	v_cndmask_b32_e64 v63, 0, 1, vcc_lo
	v_lshlrev_b32_e32 v47, v47, v45
	v_cmp_ne_u32_e64 s1, v49, v73
	v_lshrrev_b32_e32 v49, v51, v75
	v_cmp_ne_u32_e32 vcc_lo, v43, v67
	v_lshlrev_b32_e32 v53, v53, v69
	v_lshrrev_b32_e32 v73, v55, v79
	v_or_b32_e32 v84, 0x1000, v31
	v_lshlrev_b32_e32 v51, v51, v49
	s_wait_alu 0xfffd
	v_cndmask_b32_e64 v43, 0, 1, vcc_lo
	v_cmp_ne_u32_e32 vcc_lo, v47, v71
	v_cmp_ne_u32_e64 s2, v53, v77
	v_lshrrev_b32_e32 v53, v57, v81
	v_lshlrev_b32_e32 v55, v55, v73
	v_lshrrev_b32_e32 v77, v59, v84
	s_wait_alu 0xfffd
	v_cndmask_b32_e64 v47, 0, 1, vcc_lo
	v_cmp_ne_u32_e32 vcc_lo, v51, v75
	v_lshlrev_b32_e32 v57, v57, v53
	v_or_b32_e32 v63, v83, v63
	v_lshlrev_b32_e32 v59, v59, v77
	s_wait_alu 0xf1ff
	v_cndmask_b32_e64 v67, 0, 1, s0
	s_wait_alu 0xfffd
	v_cndmask_b32_e64 v51, 0, 1, vcc_lo
	v_cmp_ne_u32_e32 vcc_lo, v55, v79
	v_or_b32_e32 v43, v65, v43
	v_cndmask_b32_e64 v71, 0, 1, s1
	v_or_b32_e32 v65, v87, v67
	v_or_b32_e32 v45, v45, v47
	s_wait_alu 0xfffd
	v_cndmask_b32_e64 v55, 0, 1, vcc_lo
	v_cmp_ne_u32_e32 vcc_lo, v57, v81
	v_or_b32_e32 v47, v49, v51
	v_or_b32_e32 v41, v41, v71
	v_cndmask_b32_e64 v75, 0, 1, s2
	v_or_b32_e32 v51, v73, v55
	s_wait_alu 0xfffd
	v_cndmask_b32_e64 v57, 0, 1, vcc_lo
	v_cmp_ne_u32_e32 vcc_lo, v59, v84
	v_lshrrev_b32_e32 v12, 16, v12
	v_or_b32_e32 v49, v69, v75
	v_lshl_or_b32 v13, v13, 9, 0x7c00
	v_or_b32_e32 v53, v53, v57
	s_wait_alu 0xfffd
	v_cndmask_b32_e64 v59, 0, 1, vcc_lo
	v_cmp_gt_i32_e32 vcc_lo, 1, v29
	v_lshl_or_b32 v15, v15, 9, 0x7c00
	v_lshl_or_b32 v21, v21, 9, 0x7c00
	v_lshrrev_b32_e32 v3, 16, v3
	v_or_b32_e32 v55, v77, v59
	s_wait_alu 0xfffd
	v_cndmask_b32_e32 v11, v64, v11, vcc_lo
	v_cmp_gt_i32_e32 vcc_lo, 1, v42
	v_lshrrev_b32_e32 v14, 16, v14
	v_lshrrev_b32_e32 v22, 16, v22
	v_lshl_or_b32 v7, v7, 9, 0x7c00
	v_lshrrev_b32_e32 v16, 16, v16
	s_wait_alu 0xfffd
	v_cndmask_b32_e32 v57, v66, v63, vcc_lo
	v_cmp_gt_i32_e32 vcc_lo, 1, v44
	v_and_b32_e32 v63, 7, v11
	v_lshrrev_b32_e32 v11, 2, v11
	v_lshrrev_b32_e32 v8, 16, v8
	v_lshl_or_b32 v9, v9, 9, 0x7c00
	s_wait_alu 0xfffd
	v_cndmask_b32_e32 v43, v68, v43, vcc_lo
	v_cmp_gt_i32_e32 vcc_lo, 1, v46
	v_cmp_eq_u32_e64 s0, 3, v63
	v_lshrrev_b32_e32 v10, 16, v10
	v_or_b32_e32 v85, 0x1000, v33
	v_lshl_or_b32 v17, v17, 9, 0x7c00
	s_wait_alu 0xfffd
	v_cndmask_b32_e32 v59, v70, v65, vcc_lo
	v_cmp_gt_i32_e32 vcc_lo, 1, v48
	v_and_b32_e32 v65, 7, v43
	v_lshrrev_b32_e32 v43, 2, v43
	v_lshl_or_b32 v25, v25, 9, 0x7c00
	v_lshl_or_b32 v27, v27, 9, 0x7c00
	s_wait_alu 0xfffd
	v_cndmask_b32_e32 v45, v72, v45, vcc_lo
	v_cmp_gt_i32_e32 vcc_lo, 1, v50
	v_cmp_lt_i32_e64 s3, 5, v65
	v_cmp_eq_u32_e64 s4, 3, v65
	v_lshrrev_b32_e32 v18, 16, v18
	v_and_b32_e32 v67, 7, v45
	s_wait_alu 0xfffd
	v_cndmask_b32_e32 v41, v74, v41, vcc_lo
	v_cmp_gt_i32_e32 vcc_lo, 1, v52
	v_lshrrev_b32_e32 v45, 2, v45
	v_lshrrev_b32_e32 v26, 16, v26
	v_cmp_lt_i32_e64 s7, 5, v67
	v_cmp_eq_u32_e64 s8, 3, v67
	s_wait_alu 0xfffd
	v_cndmask_b32_e32 v47, v76, v47, vcc_lo
	v_cmp_gt_i32_e32 vcc_lo, 1, v54
	s_delay_alu instid0(VALU_DEP_2)
	v_and_b32_e32 v69, 7, v47
	s_wait_alu 0xfffd
	v_cndmask_b32_e32 v49, v78, v49, vcc_lo
	v_cmp_gt_i32_e32 vcc_lo, 1, v56
	v_lshrrev_b32_e32 v47, 2, v47
	v_cmp_lt_i32_e64 s11, 5, v69
	v_cmp_eq_u32_e64 s12, 3, v69
	s_wait_alu 0xfffd
	v_cndmask_b32_e32 v51, v80, v51, vcc_lo
	v_cmp_gt_i32_e32 vcc_lo, 1, v58
	v_add_nc_u32_e32 v60, 0xfffffc10, v60
	s_delay_alu instid0(VALU_DEP_3)
	v_and_b32_e32 v71, 7, v51
	s_wait_alu 0xfffd
	v_cndmask_b32_e32 v53, v82, v53, vcc_lo
	v_cmp_lt_i32_e32 vcc_lo, 5, v63
	v_lshrrev_b32_e32 v51, 2, v51
	v_cmp_lt_i32_e64 s15, 5, v71
	v_cmp_eq_u32_e64 s16, 3, v71
	s_or_b32 vcc_lo, s0, vcc_lo
	s_wait_alu 0xfffe
	v_add_co_ci_u32_e32 v11, vcc_lo, 0, v11, vcc_lo
	v_and_b32_e32 v64, 7, v57
	v_lshrrev_b32_e32 v57, 2, v57
	s_delay_alu instid0(VALU_DEP_2) | instskip(SKIP_1) | instid1(VALU_DEP_1)
	v_cmp_lt_i32_e64 s1, 5, v64
	v_cmp_eq_u32_e64 s2, 3, v64
	s_or_b32 vcc_lo, s2, s1
	s_wait_alu 0xfffe
	v_add_co_ci_u32_e32 v57, vcc_lo, 0, v57, vcc_lo
	v_and_b32_e32 v66, 7, v59
	s_or_b32 vcc_lo, s4, s3
	v_lshrrev_b32_e32 v59, 2, v59
	s_wait_alu 0xfffe
	v_add_co_ci_u32_e32 v43, vcc_lo, 0, v43, vcc_lo
	v_cmp_lt_i32_e64 s5, 5, v66
	v_cmp_eq_u32_e64 s6, 3, v66
	v_and_b32_e32 v68, 7, v41
	v_lshrrev_b32_e32 v41, 2, v41
	s_delay_alu instid0(VALU_DEP_3) | instskip(NEXT) | instid1(VALU_DEP_2)
	s_or_b32 vcc_lo, s6, s5
	v_cmp_lt_i32_e64 s9, 5, v68
	v_cmp_eq_u32_e64 s10, 3, v68
	s_wait_alu 0xfffe
	v_add_co_ci_u32_e32 v59, vcc_lo, 0, v59, vcc_lo
	s_or_b32 vcc_lo, s8, s7
	v_and_b32_e32 v70, 7, v49
	s_wait_alu 0xfffe
	v_add_co_ci_u32_e32 v45, vcc_lo, 0, v45, vcc_lo
	s_or_b32 vcc_lo, s10, s9
	v_lshrrev_b32_e32 v49, 2, v49
	s_wait_alu 0xfffe
	v_add_co_ci_u32_e32 v41, vcc_lo, 0, v41, vcc_lo
	s_or_b32 vcc_lo, s12, s11
	v_cmp_lt_i32_e64 s13, 5, v70
	v_cmp_eq_u32_e64 s14, 3, v70
	s_wait_alu 0xfffe
	v_add_co_ci_u32_e32 v47, vcc_lo, 0, v47, vcc_lo
	v_and_b32_e32 v72, 7, v53
	v_lshrrev_b32_e32 v53, 2, v53
	s_or_b32 vcc_lo, s14, s13
	s_wait_alu 0xfffe
	v_add_co_ci_u32_e32 v49, vcc_lo, 0, v49, vcc_lo
	v_cmp_lt_i32_e64 s17, 5, v72
	v_cmp_eq_u32_e64 s18, 3, v72
	s_or_b32 vcc_lo, s16, s15
	s_wait_alu 0xfffe
	v_add_co_ci_u32_e32 v51, vcc_lo, 0, v51, vcc_lo
	s_delay_alu instid0(VALU_DEP_2)
	s_or_b32 vcc_lo, s18, s17
	s_wait_alu 0xfffe
	v_add_co_ci_u32_e32 v53, vcc_lo, 0, v53, vcc_lo
	v_cmp_gt_i32_e32 vcc_lo, 31, v29
	s_wait_alu 0xfffd
	v_cndmask_b32_e32 v11, 0x7c00, v11, vcc_lo
	v_cmp_gt_i32_e32 vcc_lo, 31, v42
	s_wait_alu 0xfffd
	v_cndmask_b32_e32 v57, 0x7c00, v57, vcc_lo
	;; [unrolled: 3-line block ×10, first 2 shown]
	v_cmp_eq_u32_e32 vcc_lo, 0x40f, v29
	s_wait_alu 0xfffd
	v_cndmask_b32_e32 v0, v11, v0, vcc_lo
	v_cmp_eq_u32_e32 vcc_lo, 0x40f, v42
	s_delay_alu instid0(VALU_DEP_2) | instskip(SKIP_3) | instid1(VALU_DEP_3)
	v_and_or_b32 v0, 0x8000, v12, v0
	s_wait_alu 0xfffd
	v_cndmask_b32_e32 v2, v57, v2, vcc_lo
	v_cmp_eq_u32_e32 vcc_lo, 0x40f, v44
	v_and_b32_e32 v0, 0xffff, v0
	s_delay_alu instid0(VALU_DEP_3) | instskip(SKIP_3) | instid1(VALU_DEP_3)
	v_and_or_b32 v2, 0x8000, v3, v2
	s_wait_alu 0xfffd
	v_cndmask_b32_e32 v11, v43, v13, vcc_lo
	v_cmp_eq_u32_e32 vcc_lo, 0x40f, v46
	v_lshl_or_b32 v0, v2, 16, v0
	s_delay_alu instid0(VALU_DEP_3) | instskip(SKIP_3) | instid1(VALU_DEP_3)
	v_and_or_b32 v3, 0x8000, v14, v11
	s_wait_alu 0xfffd
	v_cndmask_b32_e32 v13, v59, v15, vcc_lo
	v_cmp_eq_u32_e32 vcc_lo, 0x40f, v48
	v_and_b32_e32 v3, 0xffff, v3
	s_delay_alu instid0(VALU_DEP_3)
	v_and_or_b32 v12, 0x8000, v16, v13
	s_wait_alu 0xfffd
	v_cndmask_b32_e32 v15, v45, v21, vcc_lo
	v_cmp_eq_u32_e32 vcc_lo, 0x40f, v50
	v_lshrrev_b32_e32 v16, 16, v1
	v_lshl_or_b32 v2, v12, 16, v3
	s_delay_alu instid0(VALU_DEP_4) | instskip(SKIP_4) | instid1(VALU_DEP_3)
	v_and_or_b32 v11, 0x8000, v22, v15
	s_wait_alu 0xfffd
	v_cndmask_b32_e32 v7, v41, v7, vcc_lo
	v_cmp_eq_u32_e32 vcc_lo, 0x40f, v52
	v_add_nc_u32_e32 v15, 0xfffffc10, v62
	v_and_or_b32 v7, 0x8000, v8, v7
	s_wait_alu 0xfffd
	v_dual_cndmask_b32 v9, v47, v9 :: v_dual_and_b32 v8, 0xffff, v11
	v_cmp_eq_u32_e32 vcc_lo, 0x40f, v54
	v_lshrrev_b32_e32 v11, 16, v28
	v_cmp_gt_i32_e64 s1, 1, v15
	s_delay_alu instid0(VALU_DEP_4)
	v_and_or_b32 v9, 0x8000, v10, v9
	v_lshl_or_b32 v3, v7, 16, v8
	s_clause 0x2
	global_store_b32 v[19:20], v0, off
	global_store_b32 v[23:24], v2, off
	global_store_b32 v[35:36], v3, off
	v_mul_f64_e32 v[2:3], s[22:23], v[37:38]
	s_wait_alu 0xfffd
	v_cndmask_b32_e32 v17, v49, v17, vcc_lo
	v_cmp_eq_u32_e32 vcc_lo, 0x40f, v56
	v_and_b32_e32 v8, 0xffff, v9
	v_lshrrev_b32_e32 v9, v61, v85
	v_lshl_or_b32 v0, v60, 12, v31
	v_and_or_b32 v10, 0x8000, v18, v17
	s_wait_loadcnt 0x2
	v_lshrrev_b32_e32 v19, 16, v4
	v_lshrrev_b32_e32 v24, 16, v32
	v_lshlrev_b32_e32 v12, v61, v9
	s_wait_alu 0xfffd
	v_cndmask_b32_e32 v21, v51, v25, vcc_lo
	v_cmp_eq_u32_e32 vcc_lo, 0x40f, v58
	v_lshl_or_b32 v17, v10, 16, v8
	s_delay_alu instid0(VALU_DEP_3) | instskip(SKIP_3) | instid1(VALU_DEP_2)
	v_and_or_b32 v7, 0x8000, v26, v21
	s_wait_alu 0xfffd
	v_cndmask_b32_e32 v25, v53, v27, vcc_lo
	v_cmp_gt_i32_e32 vcc_lo, 1, v60
	v_and_or_b32 v10, 0x8000, v11, v25
	s_wait_alu 0xfffd
	v_cndmask_b32_e32 v0, v0, v55, vcc_lo
	v_cmp_ne_u32_e32 vcc_lo, v12, v85
	v_and_b32_e32 v11, 0xffff, v7
	s_delay_alu instid0(VALU_DEP_3)
	v_and_b32_e32 v13, 7, v0
	s_wait_alu 0xfffd
	v_cndmask_b32_e64 v12, 0, 1, vcc_lo
	v_add_co_u32 v7, vcc_lo, v35, s20
	s_wait_alu 0xfffd
	v_add_co_ci_u32_e32 v8, vcc_lo, s21, v36, vcc_lo
	v_cmp_lt_i32_e32 vcc_lo, 5, v13
	v_cmp_eq_u32_e64 s0, 3, v13
	v_lshrrev_b32_e32 v0, 2, v0
	v_lshl_or_b32 v18, v10, 16, v11
	v_or_b32_e32 v9, v9, v12
	v_lshl_or_b32 v10, v15, 12, v33
	v_mul_f16_e32 v11, v16, v19
	s_or_b32 vcc_lo, s0, vcc_lo
	v_and_or_b32 v2, 0x1ff, v3, v2
	s_wait_alu 0xfffe
	v_add_co_ci_u32_e32 v0, vcc_lo, 0, v0, vcc_lo
	v_cndmask_b32_e64 v13, v10, v9, s1
	v_cmp_ne_u32_e32 vcc_lo, 0, v31
	v_fmac_f16_e32 v11, v1, v4
	v_mul_f64_e32 v[9:10], s[22:23], v[39:40]
	v_cmp_ne_u32_e64 s1, 0, v2
	v_and_b32_e32 v14, 7, v13
	s_wait_alu 0xfffd
	v_cndmask_b32_e64 v12, 0, 1, vcc_lo
	v_cvt_f32_f16_e32 v11, v11
	v_cmp_gt_i32_e32 vcc_lo, 31, v60
	s_wait_alu 0xf1ff
	v_cndmask_b32_e64 v2, 0, 1, s1
	v_cmp_eq_u32_e64 s0, 3, v14
	v_lshl_or_b32 v20, v12, 9, 0x7c00
	v_cvt_f64_f32_e32 v[11:12], v11
	s_wait_alu 0xfffd
	v_cndmask_b32_e32 v0, 0x7c00, v0, vcc_lo
	v_cmp_lt_i32_e32 vcc_lo, 5, v14
	v_lshrrev_b32_e32 v14, 8, v3
	v_bfe_u32 v21, v3, 20, 11
	v_lshrrev_b32_e32 v13, 2, v13
	v_cmp_eq_u32_e64 s1, 0x40f, v60
	s_or_b32 vcc_lo, s0, vcc_lo
	v_and_or_b32 v2, 0xffe, v14, v2
	v_sub_nc_u32_e32 v14, 0x3f1, v21
	s_wait_alu 0xfffe
	v_add_co_ci_u32_e32 v13, vcc_lo, 0, v13, vcc_lo
	v_cmp_ne_u32_e32 vcc_lo, 0, v33
	v_or_b32_e32 v22, 0x1000, v2
	v_med3_i32 v23, v14, 0, 13
	v_cndmask_b32_e64 v0, v0, v20, s1
	v_mul_f16_e32 v19, v1, v19
	s_wait_alu 0xfffd
	v_cndmask_b32_e64 v20, 0, 1, vcc_lo
	v_cmp_gt_i32_e32 vcc_lo, 31, v15
	v_lshrrev_b32_e32 v26, v23, v22
	v_and_or_b32 v24, 0x8000, v24, v0
	v_fma_f16 v4, v4, v16, -v19
	v_lshl_or_b32 v20, v20, 9, 0x7c00
	s_wait_alu 0xfffd
	v_cndmask_b32_e32 v25, 0x7c00, v13, vcc_lo
	v_add_co_u32 v13, vcc_lo, v7, s20
	s_wait_alu 0xfffd
	v_add_co_ci_u32_e32 v14, vcc_lo, s21, v8, vcc_lo
	v_lshlrev_b32_e32 v0, v23, v26
	v_cmp_eq_u32_e32 vcc_lo, 0x40f, v15
	v_and_or_b32 v9, 0x1ff, v10, v9
	v_add_nc_u32_e32 v19, 0xfffffc10, v21
	v_cvt_f32_f16_e32 v4, v4
	v_lshrrev_b32_e32 v23, 16, v34
	s_wait_alu 0xfffd
	v_cndmask_b32_e32 v20, v25, v20, vcc_lo
	v_cmp_ne_u32_e32 vcc_lo, v0, v22
	v_lshrrev_b32_e32 v22, 8, v10
	v_bfe_u32 v25, v10, 20, 11
	v_mul_f64_e32 v[0:1], s[22:23], v[11:12]
	v_add_nc_u32_e32 v11, 0x400, v30
	s_wait_alu 0xfffd
	v_cndmask_b32_e64 v15, 0, 1, vcc_lo
	v_cmp_ne_u32_e32 vcc_lo, 0, v9
	v_sub_nc_u32_e32 v16, 0x3f1, v25
	v_cmp_eq_u32_e64 s1, 0x40f, v19
	ds_load_2addr_b32 v[11:12], v11 offset0:80 offset1:122
	v_or_b32_e32 v21, v26, v15
	s_wait_alu 0xfffd
	v_cndmask_b32_e64 v9, 0, 1, vcc_lo
	v_med3_i32 v27, v16, 0, 13
	v_cvt_f64_f32_e32 v[15:16], v4
	v_cmp_gt_i32_e32 vcc_lo, 1, v19
	v_and_or_b32 v4, 0x8000, v23, v20
	v_and_or_b32 v9, 0xffe, v22, v9
	v_lshl_or_b32 v22, v19, 12, v2
	v_and_b32_e32 v20, 0xffff, v24
	s_clause 0x1
	global_store_b32 v[7:8], v17, off
	global_store_b32 v[13:14], v18, off
	s_wait_loadcnt 0x1
	v_lshrrev_b32_e32 v23, 16, v5
	v_or_b32_e32 v26, 0x1000, v9
	s_wait_alu 0xfffd
	v_cndmask_b32_e32 v21, v22, v21, vcc_lo
	v_lshl_or_b32 v17, v4, 16, v20
	v_add_co_u32 v7, vcc_lo, v13, s20
	v_lshrrev_b32_e32 v22, v27, v26
	s_delay_alu instid0(VALU_DEP_4)
	v_and_b32_e32 v4, 7, v21
	s_wait_alu 0xfffd
	v_add_co_ci_u32_e32 v8, vcc_lo, s21, v14, vcc_lo
	s_wait_dscnt 0x0
	v_lshrrev_b32_e32 v20, 16, v11
	v_lshlrev_b32_e32 v18, v27, v22
	v_cmp_lt_i32_e32 vcc_lo, 5, v4
	v_lshrrev_b32_e32 v3, 16, v3
	v_lshrrev_b32_e32 v10, 16, v10
	v_mul_f16_e32 v14, v20, v23
	v_cmp_ne_u32_e64 s0, v18, v26
	v_add_nc_u32_e32 v18, 0xfffffc10, v25
	s_delay_alu instid0(VALU_DEP_3) | instskip(SKIP_1) | instid1(VALU_DEP_3)
	v_fmac_f16_e32 v14, v11, v5
	s_wait_alu 0xf1ff
	v_cndmask_b32_e64 v13, 0, 1, s0
	v_cmp_eq_u32_e64 s0, 3, v4
	v_lshrrev_b32_e32 v4, 2, v21
	v_lshl_or_b32 v21, v18, 12, v9
	v_and_or_b32 v0, 0x1ff, v1, v0
	v_or_b32_e32 v13, v22, v13
	s_or_b32 vcc_lo, s0, vcc_lo
	v_cvt_f32_f16_e32 v14, v14
	s_wait_alu 0xfffe
	v_add_co_ci_u32_e32 v4, vcc_lo, 0, v4, vcc_lo
	v_cmp_gt_i32_e32 vcc_lo, 1, v18
	v_mul_f64_e32 v[15:16], s[22:23], v[15:16]
	v_lshrrev_b32_e32 v22, 8, v1
	v_bfe_u32 v24, v1, 20, 11
	v_mul_f16_e32 v11, v11, v23
	s_wait_alu 0xfffd
	v_cndmask_b32_e32 v21, v21, v13, vcc_lo
	v_cmp_ne_u32_e32 vcc_lo, 0, v0
	v_cvt_f64_f32_e32 v[13:14], v14
	v_fma_f16 v5, v5, v20, -v11
	s_delay_alu instid0(VALU_DEP_4)
	v_and_b32_e32 v25, 7, v21
	s_wait_alu 0xfffd
	v_cndmask_b32_e64 v0, 0, 1, vcc_lo
	v_cmp_ne_u32_e32 vcc_lo, 0, v2
	v_lshrrev_b32_e32 v21, 2, v21
	v_cvt_f32_f16_e32 v5, v5
	v_cmp_eq_u32_e64 s0, 3, v25
	v_and_or_b32 v0, 0xffe, v22, v0
	s_wait_alu 0xfffd
	v_cndmask_b32_e64 v2, 0, 1, vcc_lo
	v_cmp_gt_i32_e32 vcc_lo, 31, v19
	v_sub_nc_u32_e32 v22, 0x3f1, v24
	v_add_nc_u32_e32 v24, 0xfffffc10, v24
	v_or_b32_e32 v26, 0x1000, v0
	v_lshl_or_b32 v2, v2, 9, 0x7c00
	s_wait_alu 0xfffd
	v_cndmask_b32_e32 v4, 0x7c00, v4, vcc_lo
	v_cmp_lt_i32_e32 vcc_lo, 5, v25
	v_med3_i32 v22, v22, 0, 13
	s_delay_alu instid0(VALU_DEP_3) | instskip(SKIP_1) | instid1(VALU_DEP_2)
	v_cndmask_b32_e64 v2, v4, v2, s1
	s_or_b32 vcc_lo, s0, vcc_lo
	v_lshrrev_b32_e32 v4, v22, v26
	s_wait_alu 0xfffe
	v_add_co_ci_u32_e32 v19, vcc_lo, 0, v21, vcc_lo
	v_cmp_ne_u32_e32 vcc_lo, 0, v9
	s_delay_alu instid0(VALU_DEP_3) | instskip(SKIP_4) | instid1(VALU_DEP_3)
	v_lshlrev_b32_e32 v21, v22, v4
	v_and_or_b32 v22, 0x8000, v3, v2
	s_wait_alu 0xfffd
	v_cndmask_b32_e64 v9, 0, 1, vcc_lo
	v_cmp_gt_i32_e32 vcc_lo, 31, v18
	v_and_b32_e32 v20, 0xffff, v22
	s_delay_alu instid0(VALU_DEP_3)
	v_lshl_or_b32 v9, v9, 9, 0x7c00
	s_wait_alu 0xfffd
	v_cndmask_b32_e32 v19, 0x7c00, v19, vcc_lo
	v_cmp_ne_u32_e32 vcc_lo, v21, v26
	v_mul_f64_e32 v[2:3], s[22:23], v[13:14]
	v_and_or_b32 v13, 0x1ff, v16, v15
	v_bfe_u32 v14, v16, 20, 11
	s_wait_alu 0xfffd
	v_cndmask_b32_e64 v21, 0, 1, vcc_lo
	v_cmp_eq_u32_e32 vcc_lo, 0x40f, v18
	v_lshl_or_b32 v18, v24, 12, v0
	v_sub_nc_u32_e32 v15, 0x3f1, v14
	v_add_nc_u32_e32 v14, 0xfffffc10, v14
	v_or_b32_e32 v4, v4, v21
	s_wait_alu 0xfffd
	v_cndmask_b32_e32 v9, v19, v9, vcc_lo
	v_cmp_gt_i32_e32 vcc_lo, 1, v24
	s_wait_loadcnt 0x0
	v_lshrrev_b32_e32 v19, 16, v6
	v_med3_i32 v15, v15, 0, 13
	v_and_or_b32 v9, 0x8000, v10, v9
	s_wait_alu 0xfffd
	v_cndmask_b32_e32 v11, v18, v4, vcc_lo
	v_cmp_ne_u32_e32 vcc_lo, 0, v13
	v_lshrrev_b32_e32 v13, 8, v16
	v_lshrrev_b32_e32 v18, 16, v12
	v_lshl_or_b32 v20, v9, 16, v20
	v_and_b32_e32 v10, 7, v11
	s_wait_alu 0xfffd
	v_cndmask_b32_e64 v4, 0, 1, vcc_lo
	v_lshrrev_b32_e32 v9, 2, v11
	v_mul_f16_e32 v22, v18, v19
	v_cmp_lt_i32_e32 vcc_lo, 5, v10
	s_delay_alu instid0(VALU_DEP_4)
	v_and_or_b32 v13, 0xffe, v13, v4
	v_cvt_f64_f32_e32 v[4:5], v5
	v_cmp_eq_u32_e64 s0, 3, v10
	v_fmac_f16_e32 v22, v12, v6
	v_mul_f16_e32 v12, v12, v19
	v_or_b32_e32 v21, 0x1000, v13
	s_delay_alu instid0(VALU_DEP_4) | instskip(NEXT) | instid1(VALU_DEP_3)
	s_or_b32 vcc_lo, s0, vcc_lo
	v_cvt_f32_f16_e32 v10, v22
	s_wait_alu 0xfffe
	v_add_co_ci_u32_e32 v9, vcc_lo, 0, v9, vcc_lo
	v_lshrrev_b32_e32 v11, v15, v21
	v_cmp_ne_u32_e32 vcc_lo, 0, v0
	v_and_or_b32 v2, 0x1ff, v3, v2
	v_lshrrev_b32_e32 v19, 8, v3
	v_fma_f16 v6, v6, v18, -v12
	v_lshlrev_b32_e32 v15, v15, v11
	s_wait_alu 0xfffd
	v_cndmask_b32_e64 v0, 0, 1, vcc_lo
	v_cmp_gt_i32_e32 vcc_lo, 31, v24
	v_lshl_or_b32 v12, v14, 12, v13
	v_cvt_f32_f16_e32 v6, v6
	s_delay_alu instid0(VALU_DEP_4)
	v_lshl_or_b32 v0, v0, 9, 0x7c00
	s_wait_alu 0xfffd
	v_cndmask_b32_e32 v22, 0x7c00, v9, vcc_lo
	v_cvt_f64_f32_e32 v[9:10], v10
	v_cmp_ne_u32_e32 vcc_lo, v15, v21
	s_wait_alu 0xfffd
	v_cndmask_b32_e64 v15, 0, 1, vcc_lo
	v_cmp_ne_u32_e32 vcc_lo, 0, v2
	s_delay_alu instid0(VALU_DEP_2)
	v_or_b32_e32 v11, v11, v15
	s_wait_alu 0xfffd
	v_cndmask_b32_e64 v2, 0, 1, vcc_lo
	v_bfe_u32 v15, v3, 20, 11
	v_cmp_gt_i32_e32 vcc_lo, 1, v14
	v_mul_f64_e32 v[4:5], s[22:23], v[4:5]
	v_lshrrev_b32_e32 v3, 16, v3
	v_and_or_b32 v2, 0xffe, v19, v2
	v_sub_nc_u32_e32 v18, 0x3f1, v15
	s_wait_alu 0xfffd
	v_cndmask_b32_e32 v19, v12, v11, vcc_lo
	v_cmp_eq_u32_e32 vcc_lo, 0x40f, v24
	v_cvt_f64_f32_e32 v[11:12], v6
	v_or_b32_e32 v21, 0x1000, v2
	v_med3_i32 v18, v18, 0, 13
	s_wait_alu 0xfffd
	v_dual_cndmask_b32 v6, v22, v0 :: v_dual_and_b32 v23, 7, v19
	v_add_co_u32 v0, vcc_lo, v7, s20
	s_delay_alu instid0(VALU_DEP_3)
	v_lshrrev_b32_e32 v24, v18, v21
	v_lshrrev_b32_e32 v22, 16, v1
	s_wait_alu 0xfffd
	v_add_co_ci_u32_e32 v1, vcc_lo, s21, v8, vcc_lo
	v_cmp_lt_i32_e32 vcc_lo, 5, v23
	v_cmp_eq_u32_e64 s0, 3, v23
	v_lshrrev_b32_e32 v19, 2, v19
	v_lshlrev_b32_e32 v18, v18, v24
	v_add_nc_u32_e32 v15, 0xfffffc10, v15
	v_and_or_b32 v6, 0x8000, v22, v6
	s_or_b32 vcc_lo, s0, vcc_lo
	v_mul_f64_e32 v[9:10], s[22:23], v[9:10]
	s_wait_alu 0xfffe
	v_add_co_ci_u32_e32 v19, vcc_lo, 0, v19, vcc_lo
	v_cmp_ne_u32_e64 s1, v18, v21
	v_cmp_ne_u32_e32 vcc_lo, 0, v13
	v_lshl_or_b32 v21, v15, 12, v2
	v_and_b32_e32 v6, 0xffff, v6
	s_wait_alu 0xf1ff
	v_cndmask_b32_e64 v18, 0, 1, s1
	s_wait_alu 0xfffd
	v_cndmask_b32_e64 v13, 0, 1, vcc_lo
	v_cmp_gt_i32_e32 vcc_lo, 31, v14
	s_delay_alu instid0(VALU_DEP_3) | instskip(NEXT) | instid1(VALU_DEP_3)
	v_or_b32_e32 v18, v24, v18
	v_lshl_or_b32 v13, v13, 9, 0x7c00
	s_wait_alu 0xfffd
	v_cndmask_b32_e32 v19, 0x7c00, v19, vcc_lo
	v_cmp_gt_i32_e32 vcc_lo, 1, v15
	v_and_or_b32 v4, 0x1ff, v5, v4
	v_mul_f64_e32 v[11:12], s[22:23], v[11:12]
	s_wait_alu 0xfffd
	v_cndmask_b32_e32 v18, v21, v18, vcc_lo
	v_cmp_eq_u32_e32 vcc_lo, 0x40f, v14
	v_lshrrev_b32_e32 v14, 16, v16
	v_bfe_u32 v21, v5, 20, 11
	s_wait_alu 0xfffd
	v_dual_cndmask_b32 v13, v19, v13 :: v_dual_and_b32 v16, 7, v18
	v_cmp_ne_u32_e32 vcc_lo, 0, v4
	v_lshrrev_b32_e32 v19, 8, v5
	v_lshrrev_b32_e32 v5, 16, v5
	s_delay_alu instid0(VALU_DEP_4)
	v_cmp_eq_u32_e64 s0, 3, v16
	v_and_or_b32 v13, 0x8000, v14, v13
	s_wait_alu 0xfffd
	v_cndmask_b32_e64 v4, 0, 1, vcc_lo
	v_cmp_lt_i32_e32 vcc_lo, 5, v16
	v_sub_nc_u32_e32 v14, 0x3f1, v21
	v_lshl_or_b32 v6, v13, 16, v6
	v_lshrrev_b32_e32 v13, 2, v18
	v_and_or_b32 v4, 0xffe, v19, v4
	s_or_b32 vcc_lo, s0, vcc_lo
	v_med3_i32 v14, v14, 0, 13
	v_and_or_b32 v9, 0x1ff, v10, v9
	s_wait_alu 0xfffe
	v_add_co_ci_u32_e32 v13, vcc_lo, 0, v13, vcc_lo
	v_or_b32_e32 v16, 0x1000, v4
	v_cmp_ne_u32_e32 vcc_lo, 0, v2
	v_lshrrev_b32_e32 v19, 8, v10
	v_bfe_u32 v22, v10, 20, 11
	v_lshrrev_b32_e32 v10, 16, v10
	v_lshrrev_b32_e32 v18, v14, v16
	s_wait_alu 0xfffd
	v_cndmask_b32_e64 v2, 0, 1, vcc_lo
	v_cmp_gt_i32_e32 vcc_lo, 31, v15
	s_delay_alu instid0(VALU_DEP_3) | instskip(NEXT) | instid1(VALU_DEP_3)
	v_lshlrev_b32_e32 v14, v14, v18
	v_lshl_or_b32 v2, v2, 9, 0x7c00
	s_wait_alu 0xfffd
	v_cndmask_b32_e32 v13, 0x7c00, v13, vcc_lo
	v_cmp_ne_u32_e32 vcc_lo, 0, v9
	v_and_or_b32 v11, 0x1ff, v12, v11
	s_wait_alu 0xfffd
	v_cndmask_b32_e64 v9, 0, 1, vcc_lo
	v_cmp_ne_u32_e32 vcc_lo, v14, v16
	v_add_nc_u32_e32 v16, 0xfffffc10, v21
	v_bfe_u32 v21, v12, 20, 11
	s_delay_alu instid0(VALU_DEP_4)
	v_and_or_b32 v9, 0xffe, v19, v9
	s_wait_alu 0xfffd
	v_cndmask_b32_e64 v14, 0, 1, vcc_lo
	v_sub_nc_u32_e32 v19, 0x3f1, v22
	v_cmp_eq_u32_e32 vcc_lo, 0x40f, v15
	v_or_b32_e32 v15, 0x1000, v9
	s_wait_alu 0xfffd
	v_cndmask_b32_e32 v2, v13, v2, vcc_lo
	v_or_b32_e32 v13, v18, v14
	v_lshl_or_b32 v14, v16, 12, v4
	v_med3_i32 v18, v19, 0, 13
	v_cmp_gt_i32_e32 vcc_lo, 1, v16
	v_lshrrev_b32_e32 v19, 8, v12
	v_and_or_b32 v2, 0x8000, v3, v2
	s_wait_alu 0xfffd
	v_cndmask_b32_e32 v13, v14, v13, vcc_lo
	v_lshrrev_b32_e32 v14, v18, v15
	v_cmp_ne_u32_e32 vcc_lo, 0, v11
	s_delay_alu instid0(VALU_DEP_3) | instskip(NEXT) | instid1(VALU_DEP_3)
	v_and_b32_e32 v23, 7, v13
	v_lshlrev_b32_e32 v18, v18, v14
	s_wait_alu 0xfffd
	v_cndmask_b32_e64 v11, 0, 1, vcc_lo
	v_lshrrev_b32_e32 v13, 2, v13
	v_cmp_lt_i32_e32 vcc_lo, 5, v23
	v_cmp_ne_u32_e64 s0, v18, v15
	s_delay_alu instid0(VALU_DEP_4)
	v_and_or_b32 v3, 0xffe, v19, v11
	v_sub_nc_u32_e32 v11, 0x3f1, v21
	v_add_nc_u32_e32 v19, 0xfffffc10, v22
	s_wait_alu 0xf1ff
	v_cndmask_b32_e64 v15, 0, 1, s0
	v_cmp_eq_u32_e64 s0, 3, v23
	v_or_b32_e32 v18, 0x1000, v3
	v_med3_i32 v11, v11, 0, 13
	v_lshl_or_b32 v22, v19, 12, v9
	v_or_b32_e32 v14, v14, v15
	s_or_b32 vcc_lo, s0, vcc_lo
	s_wait_alu 0xfffe
	v_add_co_ci_u32_e32 v13, vcc_lo, 0, v13, vcc_lo
	v_lshrrev_b32_e32 v15, v11, v18
	v_cmp_gt_i32_e32 vcc_lo, 1, v19
	s_wait_alu 0xfffd
	s_delay_alu instid0(VALU_DEP_2) | instskip(SKIP_3) | instid1(VALU_DEP_3)
	v_dual_cndmask_b32 v14, v22, v14 :: v_dual_lshlrev_b32 v11, v11, v15
	v_cmp_ne_u32_e32 vcc_lo, 0, v4
	s_wait_alu 0xfffd
	v_cndmask_b32_e64 v4, 0, 1, vcc_lo
	v_cmp_ne_u32_e32 vcc_lo, v11, v18
	v_add_nc_u32_e32 v18, 0xfffffc10, v21
	v_and_b32_e32 v21, 7, v14
	s_delay_alu instid0(VALU_DEP_4)
	v_lshl_or_b32 v4, v4, 9, 0x7c00
	s_wait_alu 0xfffd
	v_cndmask_b32_e64 v11, 0, 1, vcc_lo
	v_cmp_gt_i32_e32 vcc_lo, 31, v16
	v_cmp_gt_i32_e64 s1, 1, v18
	v_cmp_eq_u32_e64 s0, 3, v21
	s_delay_alu instid0(VALU_DEP_4)
	v_or_b32_e32 v11, v15, v11
	v_lshl_or_b32 v15, v18, 12, v3
	s_wait_alu 0xfffd
	v_cndmask_b32_e32 v13, 0x7c00, v13, vcc_lo
	v_cmp_lt_i32_e32 vcc_lo, 5, v21
	s_wait_alu 0xf1ff
	v_cndmask_b32_e64 v11, v15, v11, s1
	v_cmp_eq_u32_e64 s1, 0x40f, v16
	s_or_b32 vcc_lo, s0, vcc_lo
	s_delay_alu instid0(VALU_DEP_1)
	v_cndmask_b32_e64 v4, v13, v4, s1
	v_lshrrev_b32_e32 v13, 2, v14
	v_and_b32_e32 v14, 7, v11
	v_lshrrev_b32_e32 v11, 2, v11
	v_cmp_gt_i32_e64 s1, 31, v19
	v_and_or_b32 v4, 0x8000, v5, v4
	s_wait_alu 0xfffe
	v_add_co_ci_u32_e32 v13, vcc_lo, 0, v13, vcc_lo
	v_cmp_ne_u32_e32 vcc_lo, 0, v9
	v_cmp_eq_u32_e64 s0, 3, v14
	v_and_b32_e32 v5, 0xffff, v2
	s_wait_alu 0xf1ff
	v_cndmask_b32_e64 v13, 0x7c00, v13, s1
	s_wait_alu 0xfffd
	v_cndmask_b32_e64 v9, 0, 1, vcc_lo
	v_cmp_lt_i32_e32 vcc_lo, 5, v14
	s_delay_alu instid0(VALU_DEP_2)
	v_lshl_or_b32 v9, v9, 9, 0x7c00
	s_or_b32 vcc_lo, s0, vcc_lo
	s_wait_alu 0xfffe
	v_add_co_ci_u32_e32 v11, vcc_lo, 0, v11, vcc_lo
	v_cmp_ne_u32_e32 vcc_lo, 0, v3
	s_wait_alu 0xfffd
	v_cndmask_b32_e64 v3, 0, 1, vcc_lo
	v_cmp_eq_u32_e32 vcc_lo, 0x40f, v19
	s_delay_alu instid0(VALU_DEP_2) | instskip(SKIP_3) | instid1(VALU_DEP_2)
	v_lshl_or_b32 v3, v3, 9, 0x7c00
	s_wait_alu 0xfffd
	v_cndmask_b32_e32 v9, v13, v9, vcc_lo
	v_cmp_gt_i32_e32 vcc_lo, 31, v18
	v_and_or_b32 v9, 0x8000, v10, v9
	s_wait_alu 0xfffd
	v_cndmask_b32_e32 v11, 0x7c00, v11, vcc_lo
	v_cmp_eq_u32_e32 vcc_lo, 0x40f, v18
	s_wait_alu 0xfffd
	s_delay_alu instid0(VALU_DEP_2)
	v_dual_cndmask_b32 v10, v11, v3 :: v_dual_and_b32 v9, 0xffff, v9
	v_lshrrev_b32_e32 v11, 16, v12
	v_add_co_u32 v2, vcc_lo, v0, s20
	s_wait_alu 0xfffd
	v_add_co_ci_u32_e32 v3, vcc_lo, s21, v1, vcc_lo
	v_lshl_or_b32 v12, v4, 16, v5
	v_and_or_b32 v10, 0x8000, v11, v10
	v_add_co_u32 v4, vcc_lo, v2, s20
	s_wait_alu 0xfffd
	v_add_co_ci_u32_e32 v5, vcc_lo, s21, v3, vcc_lo
	s_delay_alu instid0(VALU_DEP_3) | instskip(NEXT) | instid1(VALU_DEP_3)
	v_lshl_or_b32 v11, v10, 16, v9
	v_add_co_u32 v9, vcc_lo, v4, s20
	s_wait_alu 0xfffd
	s_delay_alu instid0(VALU_DEP_3)
	v_add_co_ci_u32_e32 v10, vcc_lo, s21, v5, vcc_lo
	global_store_b32 v[7:8], v17, off
	global_store_b32 v[0:1], v20, off
	;; [unrolled: 1-line block ×5, first 2 shown]
.LBB0_23:
	s_nop 0
	s_sendmsg sendmsg(MSG_DEALLOC_VGPRS)
	s_endpgm
	.section	.rodata,"a",@progbits
	.p2align	6, 0x0
	.amdhsa_kernel bluestein_single_back_len420_dim1_half_op_CI_CI
		.amdhsa_group_segment_fixed_size 1680
		.amdhsa_private_segment_fixed_size 0
		.amdhsa_kernarg_size 104
		.amdhsa_user_sgpr_count 2
		.amdhsa_user_sgpr_dispatch_ptr 0
		.amdhsa_user_sgpr_queue_ptr 0
		.amdhsa_user_sgpr_kernarg_segment_ptr 1
		.amdhsa_user_sgpr_dispatch_id 0
		.amdhsa_user_sgpr_private_segment_size 0
		.amdhsa_wavefront_size32 1
		.amdhsa_uses_dynamic_stack 0
		.amdhsa_enable_private_segment 0
		.amdhsa_system_sgpr_workgroup_id_x 1
		.amdhsa_system_sgpr_workgroup_id_y 0
		.amdhsa_system_sgpr_workgroup_id_z 0
		.amdhsa_system_sgpr_workgroup_info 0
		.amdhsa_system_vgpr_workitem_id 0
		.amdhsa_next_free_vgpr 95
		.amdhsa_next_free_sgpr 24
		.amdhsa_reserve_vcc 1
		.amdhsa_float_round_mode_32 0
		.amdhsa_float_round_mode_16_64 0
		.amdhsa_float_denorm_mode_32 3
		.amdhsa_float_denorm_mode_16_64 3
		.amdhsa_fp16_overflow 0
		.amdhsa_workgroup_processor_mode 1
		.amdhsa_memory_ordered 1
		.amdhsa_forward_progress 0
		.amdhsa_round_robin_scheduling 0
		.amdhsa_exception_fp_ieee_invalid_op 0
		.amdhsa_exception_fp_denorm_src 0
		.amdhsa_exception_fp_ieee_div_zero 0
		.amdhsa_exception_fp_ieee_overflow 0
		.amdhsa_exception_fp_ieee_underflow 0
		.amdhsa_exception_fp_ieee_inexact 0
		.amdhsa_exception_int_div_zero 0
	.end_amdhsa_kernel
	.text
.Lfunc_end0:
	.size	bluestein_single_back_len420_dim1_half_op_CI_CI, .Lfunc_end0-bluestein_single_back_len420_dim1_half_op_CI_CI
                                        ; -- End function
	.section	.AMDGPU.csdata,"",@progbits
; Kernel info:
; codeLenInByte = 14992
; NumSgprs: 26
; NumVgprs: 95
; ScratchSize: 0
; MemoryBound: 0
; FloatMode: 240
; IeeeMode: 1
; LDSByteSize: 1680 bytes/workgroup (compile time only)
; SGPRBlocks: 3
; VGPRBlocks: 11
; NumSGPRsForWavesPerEU: 26
; NumVGPRsForWavesPerEU: 95
; Occupancy: 16
; WaveLimiterHint : 1
; COMPUTE_PGM_RSRC2:SCRATCH_EN: 0
; COMPUTE_PGM_RSRC2:USER_SGPR: 2
; COMPUTE_PGM_RSRC2:TRAP_HANDLER: 0
; COMPUTE_PGM_RSRC2:TGID_X_EN: 1
; COMPUTE_PGM_RSRC2:TGID_Y_EN: 0
; COMPUTE_PGM_RSRC2:TGID_Z_EN: 0
; COMPUTE_PGM_RSRC2:TIDIG_COMP_CNT: 0
	.text
	.p2alignl 7, 3214868480
	.fill 96, 4, 3214868480
	.type	__hip_cuid_401b3cb5473ff05a,@object ; @__hip_cuid_401b3cb5473ff05a
	.section	.bss,"aw",@nobits
	.globl	__hip_cuid_401b3cb5473ff05a
__hip_cuid_401b3cb5473ff05a:
	.byte	0                               ; 0x0
	.size	__hip_cuid_401b3cb5473ff05a, 1

	.ident	"AMD clang version 19.0.0git (https://github.com/RadeonOpenCompute/llvm-project roc-6.4.0 25133 c7fe45cf4b819c5991fe208aaa96edf142730f1d)"
	.section	".note.GNU-stack","",@progbits
	.addrsig
	.addrsig_sym __hip_cuid_401b3cb5473ff05a
	.amdgpu_metadata
---
amdhsa.kernels:
  - .args:
      - .actual_access:  read_only
        .address_space:  global
        .offset:         0
        .size:           8
        .value_kind:     global_buffer
      - .actual_access:  read_only
        .address_space:  global
        .offset:         8
        .size:           8
        .value_kind:     global_buffer
      - .actual_access:  read_only
        .address_space:  global
        .offset:         16
        .size:           8
        .value_kind:     global_buffer
      - .actual_access:  read_only
        .address_space:  global
        .offset:         24
        .size:           8
        .value_kind:     global_buffer
      - .actual_access:  read_only
        .address_space:  global
        .offset:         32
        .size:           8
        .value_kind:     global_buffer
      - .offset:         40
        .size:           8
        .value_kind:     by_value
      - .address_space:  global
        .offset:         48
        .size:           8
        .value_kind:     global_buffer
      - .address_space:  global
        .offset:         56
        .size:           8
        .value_kind:     global_buffer
      - .address_space:  global
        .offset:         64
        .size:           8
        .value_kind:     global_buffer
      - .address_space:  global
        .offset:         72
        .size:           8
        .value_kind:     global_buffer
      - .offset:         80
        .size:           4
        .value_kind:     by_value
      - .address_space:  global
        .offset:         88
        .size:           8
        .value_kind:     global_buffer
      - .address_space:  global
        .offset:         96
        .size:           8
        .value_kind:     global_buffer
    .group_segment_fixed_size: 1680
    .kernarg_segment_align: 8
    .kernarg_segment_size: 104
    .language:       OpenCL C
    .language_version:
      - 2
      - 0
    .max_flat_workgroup_size: 60
    .name:           bluestein_single_back_len420_dim1_half_op_CI_CI
    .private_segment_fixed_size: 0
    .sgpr_count:     26
    .sgpr_spill_count: 0
    .symbol:         bluestein_single_back_len420_dim1_half_op_CI_CI.kd
    .uniform_work_group_size: 1
    .uses_dynamic_stack: false
    .vgpr_count:     95
    .vgpr_spill_count: 0
    .wavefront_size: 32
    .workgroup_processor_mode: 1
amdhsa.target:   amdgcn-amd-amdhsa--gfx1201
amdhsa.version:
  - 1
  - 2
...

	.end_amdgpu_metadata
